;; amdgpu-corpus repo=ROCm/rocFFT kind=compiled arch=gfx1201 opt=O3
	.text
	.amdgcn_target "amdgcn-amd-amdhsa--gfx1201"
	.amdhsa_code_object_version 6
	.protected	bluestein_single_back_len1936_dim1_sp_op_CI_CI ; -- Begin function bluestein_single_back_len1936_dim1_sp_op_CI_CI
	.globl	bluestein_single_back_len1936_dim1_sp_op_CI_CI
	.p2align	8
	.type	bluestein_single_back_len1936_dim1_sp_op_CI_CI,@function
bluestein_single_back_len1936_dim1_sp_op_CI_CI: ; @bluestein_single_back_len1936_dim1_sp_op_CI_CI
; %bb.0:
	s_load_b128 s[8:11], s[0:1], 0x28
	v_mul_u32_u24_e32 v1, 0x175, v0
	s_mov_b32 s2, exec_lo
	v_mov_b32_e32 v65, 0
	s_delay_alu instid0(VALU_DEP_2) | instskip(NEXT) | instid1(VALU_DEP_1)
	v_lshrrev_b32_e32 v1, 16, v1
	v_add_nc_u32_e32 v64, ttmp9, v1
	s_wait_kmcnt 0x0
	s_delay_alu instid0(VALU_DEP_1)
	v_cmpx_gt_u64_e64 s[8:9], v[64:65]
	s_cbranch_execz .LBB0_31
; %bb.1:
	s_clause 0x1
	s_load_b128 s[4:7], s[0:1], 0x18
	s_load_b64 s[16:17], s[0:1], 0x0
	v_mul_lo_u16 v1, 0xb0, v1
	s_movk_i32 s2, 0xfce8
	s_mov_b32 s3, -1
	s_delay_alu instid0(VALU_DEP_1) | instskip(NEXT) | instid1(VALU_DEP_1)
	v_sub_nc_u16 v28, v0, v1
	v_and_b32_e32 v98, 0xffff, v28
	s_wait_kmcnt 0x0
	s_load_b128 s[12:15], s[4:5], 0x0
	s_wait_kmcnt 0x0
	v_mad_co_u64_u32 v[0:1], null, s14, v64, 0
	v_mad_co_u64_u32 v[2:3], null, s12, v98, 0
	s_mul_u64 s[4:5], s[12:13], 0x3c8
	s_mul_u64 s[2:3], s[12:13], s[2:3]
	s_delay_alu instid0(SALU_CYCLE_1) | instskip(NEXT) | instid1(VALU_DEP_1)
	s_lshl_b64 s[2:3], s[2:3], 3
	v_mad_co_u64_u32 v[4:5], null, s15, v64, v[1:2]
	s_delay_alu instid0(VALU_DEP_1) | instskip(NEXT) | instid1(VALU_DEP_3)
	v_mov_b32_e32 v1, v4
	v_mad_co_u64_u32 v[5:6], null, s13, v98, v[3:4]
	v_lshlrev_b32_e32 v97, 3, v98
	s_clause 0x2
	global_load_b64 v[73:74], v97, s[16:17] offset:7744
	global_load_b64 v[75:76], v97, s[16:17] offset:9152
	;; [unrolled: 1-line block ×3, first 2 shown]
	v_mov_b32_e32 v3, v5
	v_lshlrev_b64_e32 v[0:1], 3, v[0:1]
	s_clause 0x3
	global_load_b64 v[85:86], v97, s[16:17]
	global_load_b64 v[83:84], v97, s[16:17] offset:1408
	global_load_b64 v[81:82], v97, s[16:17] offset:2816
	;; [unrolled: 1-line block ×3, first 2 shown]
	v_lshlrev_b64_e32 v[2:3], 3, v[2:3]
	v_add_co_u32 v0, vcc_lo, s10, v0
	v_add_co_ci_u32_e32 v1, vcc_lo, s11, v1, vcc_lo
	s_lshl_b64 s[10:11], s[4:5], 3
	s_delay_alu instid0(VALU_DEP_2) | instskip(SKIP_1) | instid1(VALU_DEP_2)
	v_add_co_u32 v0, vcc_lo, v0, v2
	s_wait_alu 0xfffd
	v_add_co_ci_u32_e32 v1, vcc_lo, v1, v3, vcc_lo
	s_wait_alu 0xfffe
	s_delay_alu instid0(VALU_DEP_2) | instskip(SKIP_1) | instid1(VALU_DEP_2)
	v_add_co_u32 v2, vcc_lo, v0, s10
	s_wait_alu 0xfffd
	v_add_co_ci_u32_e32 v3, vcc_lo, s11, v1, vcc_lo
	s_clause 0x1
	global_load_b64 v[6:7], v[0:1], off
	global_load_b64 v[8:9], v[2:3], off
	v_add_co_u32 v4, vcc_lo, v2, s2
	s_wait_alu 0xfffd
	v_add_co_ci_u32_e32 v5, vcc_lo, s3, v3, vcc_lo
	s_delay_alu instid0(VALU_DEP_2) | instskip(SKIP_1) | instid1(VALU_DEP_2)
	v_add_co_u32 v0, vcc_lo, v4, s10
	s_wait_alu 0xfffd
	v_add_co_ci_u32_e32 v1, vcc_lo, s11, v5, vcc_lo
	s_delay_alu instid0(VALU_DEP_2) | instskip(SKIP_1) | instid1(VALU_DEP_2)
	v_add_co_u32 v2, vcc_lo, v0, s2
	s_wait_alu 0xfffd
	v_add_co_ci_u32_e32 v3, vcc_lo, s3, v1, vcc_lo
	s_wait_loadcnt 0x1
	v_mul_f32_e32 v26, v7, v86
	s_wait_loadcnt 0x0
	v_mul_f32_e32 v24, v9, v74
	s_delay_alu instid0(VALU_DEP_2) | instskip(NEXT) | instid1(VALU_DEP_2)
	v_dual_mul_f32 v25, v8, v74 :: v_dual_fmac_f32 v26, v6, v85
	v_fmac_f32_e32 v24, v8, v73
	global_load_b64 v[71:72], v97, s[16:17] offset:11968
	s_clause 0x1
	global_load_b64 v[4:5], v[4:5], off
	global_load_b64 v[10:11], v[0:1], off
	v_add_co_u32 v0, vcc_lo, v2, s10
	s_wait_alu 0xfffd
	v_add_co_ci_u32_e32 v1, vcc_lo, s11, v3, vcc_lo
	global_load_b64 v[12:13], v[2:3], off
	v_add_co_u32 v2, vcc_lo, v0, s2
	s_wait_alu 0xfffd
	v_add_co_ci_u32_e32 v3, vcc_lo, s3, v1, vcc_lo
	;; [unrolled: 4-line block ×5, first 2 shown]
	global_load_b64 v[77:78], v97, s[16:17] offset:5632
	global_load_b64 v[20:21], v[2:3], off
	global_load_b64 v[79:80], v97, s[16:17] offset:13376
	global_load_b64 v[22:23], v[0:1], off
	v_add_nc_u32_e32 v29, 0x2200, v97
	v_mul_f32_e32 v27, v6, v86
	v_fma_f32 v25, v9, v73, -v25
	s_load_b64 s[8:9], s[0:1], 0x38
	s_load_b128 s[4:7], s[6:7], 0x0
	v_add_co_u32 v65, s12, s16, v97
	s_wait_alu 0xf1ff
	v_add_co_ci_u32_e64 v66, null, s17, 0, s12
	ds_store_b64 v97, v[24:25] offset:7744
	v_add_nc_u32_e32 v2, 0xa00, v97
	v_cmp_gt_u16_e32 vcc_lo, 0x58, v28
	s_wait_loadcnt 0x9
	v_mul_f32_e32 v8, v4, v84
	v_mul_f32_e32 v3, v5, v84
	v_fma_f32 v27, v7, v85, -v27
	s_wait_loadcnt 0x7
	v_dual_mul_f32 v6, v10, v76 :: v_dual_mul_f32 v7, v13, v82
	s_delay_alu instid0(VALU_DEP_3) | instskip(SKIP_2) | instid1(VALU_DEP_4)
	v_fmac_f32_e32 v3, v4, v83
	v_fma_f32 v4, v5, v83, -v8
	v_mul_f32_e32 v5, v11, v76
	v_fma_f32 v6, v11, v75, -v6
	v_fmac_f32_e32 v7, v12, v81
	ds_store_2addr_b64 v97, v[26:27], v[3:4] offset1:176
	s_wait_loadcnt 0x6
	v_dual_mul_f32 v4, v12, v82 :: v_dual_mul_f32 v3, v15, v68
	s_wait_loadcnt 0x5
	v_mul_f32_e32 v9, v17, v70
	v_dual_fmac_f32 v5, v10, v75 :: v_dual_mul_f32 v10, v16, v70
	s_delay_alu instid0(VALU_DEP_3)
	v_fma_f32 v8, v13, v81, -v4
	v_mul_f32_e32 v4, v14, v68
	v_fmac_f32_e32 v3, v14, v67
	s_wait_loadcnt 0x4
	v_mul_f32_e32 v11, v19, v72
	v_mul_f32_e32 v12, v18, v72
	s_wait_loadcnt 0x2
	v_mul_f32_e32 v14, v20, v78
	v_mul_f32_e32 v13, v21, v78
	v_fma_f32 v4, v15, v67, -v4
	s_wait_loadcnt 0x0
	v_dual_fmac_f32 v9, v16, v69 :: v_dual_mul_f32 v16, v22, v80
	v_mul_f32_e32 v15, v23, v80
	v_fma_f32 v10, v17, v69, -v10
	v_fmac_f32_e32 v13, v20, v77
	v_fma_f32 v14, v21, v77, -v14
	v_fmac_f32_e32 v11, v18, v71
	;; [unrolled: 2-line block ×3, first 2 shown]
	v_fma_f32 v16, v23, v79, -v16
	v_add_nc_u32_e32 v17, 0x2e00, v97
	ds_store_2addr_b64 v29, v[5:6], v[3:4] offset0:56 offset1:232
	ds_store_2addr_b64 v2, v[7:8], v[9:10] offset0:32 offset1:208
	ds_store_b64 v97, v[13:14] offset:5632
	ds_store_2addr_b64 v17, v[11:12], v[15:16] offset0:24 offset1:200
	s_and_saveexec_b32 s12, vcc_lo
	s_cbranch_execz .LBB0_3
; %bb.2:
	v_add_co_u32 v0, s2, v0, s2
	s_wait_alu 0xf1ff
	v_add_co_ci_u32_e64 v1, s2, s3, v1, s2
	s_delay_alu instid0(VALU_DEP_2) | instskip(SKIP_1) | instid1(VALU_DEP_2)
	v_add_co_u32 v3, s2, v0, s10
	s_wait_alu 0xf1ff
	v_add_co_ci_u32_e64 v4, s2, s11, v1, s2
	global_load_b64 v[0:1], v[0:1], off
	s_clause 0x1
	global_load_b64 v[5:6], v[65:66], off offset:7040
	global_load_b64 v[7:8], v[65:66], off offset:14784
	global_load_b64 v[3:4], v[3:4], off
	s_wait_loadcnt 0x2
	v_mul_f32_e32 v9, v1, v6
	v_mul_f32_e32 v10, v0, v6
	s_wait_loadcnt 0x0
	v_mul_f32_e32 v6, v4, v8
	s_delay_alu instid0(VALU_DEP_3) | instskip(NEXT) | instid1(VALU_DEP_3)
	v_dual_mul_f32 v8, v3, v8 :: v_dual_fmac_f32 v9, v0, v5
	v_fma_f32 v10, v1, v5, -v10
	s_delay_alu instid0(VALU_DEP_3) | instskip(NEXT) | instid1(VALU_DEP_3)
	v_fmac_f32_e32 v6, v3, v7
	v_fma_f32 v7, v4, v7, -v8
	ds_store_b64 v97, v[9:10] offset:7040
	ds_store_b64 v97, v[6:7] offset:14784
.LBB0_3:
	s_wait_alu 0xfffe
	s_or_b32 exec_lo, exec_lo, s12
	v_add_nc_u32_e32 v0, 0x1c00, v97
	v_add_nc_u32_e32 v9, 0x2800, v97
	global_wb scope:SCOPE_SE
	s_wait_dscnt 0x0
	s_wait_kmcnt 0x0
	s_barrier_signal -1
	s_barrier_wait -1
	global_inv scope:SCOPE_SE
	ds_load_2addr_b64 v[5:8], v97 offset1:176
	ds_load_2addr_b64 v[13:16], v0 offset0:72 offset1:248
	ds_load_2addr_b64 v[1:4], v2 offset0:32 offset1:208
	;; [unrolled: 1-line block ×3, first 2 shown]
	ds_load_b64 v[17:18], v97 offset:5632
	ds_load_b64 v[21:22], v97 offset:13376
                                        ; implicit-def: $vgpr23
                                        ; implicit-def: $vgpr19
	s_and_saveexec_b32 s2, vcc_lo
	s_cbranch_execz .LBB0_5
; %bb.4:
	ds_load_b64 v[19:20], v97 offset:7040
	ds_load_b64 v[23:24], v97 offset:14784
.LBB0_5:
	s_wait_alu 0xfffe
	s_or_b32 exec_lo, exec_lo, s2
	s_load_b64 s[2:3], s[0:1], 0x8
	s_wait_dscnt 0x4
	v_dual_sub_f32 v33, v6, v14 :: v_dual_sub_f32 v16, v8, v16
	s_wait_dscnt 0x2
	v_dual_sub_f32 v15, v7, v15 :: v_dual_sub_f32 v10, v2, v10
	v_dual_sub_f32 v9, v1, v9 :: v_dual_sub_f32 v36, v3, v11
	v_add_co_u32 v29, null, 0xb0, v98
	v_add_co_u32 v28, null, 0x160, v98
	v_dual_sub_f32 v32, v5, v13 :: v_dual_lshlrev_b32 v25, 1, v98
	v_add_co_u32 v26, null, 0x370, v98
	v_fma_f32 v14, v8, 2.0, -v16
	v_fma_f32 v8, v2, 2.0, -v10
	v_fma_f32 v34, v3, 2.0, -v36
	s_wait_dscnt 0x0
	v_dual_sub_f32 v41, v18, v22 :: v_dual_sub_f32 v2, v19, v23
	v_dual_sub_f32 v3, v20, v24 :: v_dual_lshlrev_b32 v24, 1, v29
	v_dual_sub_f32 v37, v4, v12 :: v_dual_sub_f32 v40, v17, v21
	v_fma_f32 v30, v5, 2.0, -v32
	v_fma_f32 v31, v6, 2.0, -v33
	;; [unrolled: 1-line block ×6, first 2 shown]
	v_lshlrev_b32_e32 v63, 4, v98
	v_lshlrev_b32_e32 v101, 4, v29
	v_lshlrev_b32_e32 v27, 1, v28
	v_lshlrev_b32_e32 v103, 4, v28
	v_add_nc_u32_e32 v112, 0x420, v25
	v_add_nc_u32_e32 v113, 0x580, v25
	v_lshlrev_b32_e32 v102, 4, v26
	v_fma_f32 v35, v4, 2.0, -v37
	v_lshlrev_b32_e32 v4, 3, v25
	v_fma_f32 v38, v17, 2.0, -v40
	v_fma_f32 v39, v18, 2.0, -v41
	global_wb scope:SCOPE_SE
	s_wait_kmcnt 0x0
	s_barrier_signal -1
	s_barrier_wait -1
	global_inv scope:SCOPE_SE
	ds_store_b128 v63, v[30:33]
	ds_store_b128 v101, v[13:16]
	;; [unrolled: 1-line block ×3, first 2 shown]
	ds_store_b128 v4, v[34:37] offset:8448
	ds_store_b128 v4, v[38:41] offset:11264
	s_and_saveexec_b32 s0, vcc_lo
	s_cbranch_execz .LBB0_7
; %bb.6:
	ds_store_b128 v102, v[0:3]
.LBB0_7:
	s_wait_alu 0xfffe
	s_or_b32 exec_lo, exec_lo, s0
	v_add_nc_u32_e32 v4, 0x1c00, v97
	v_add_nc_u32_e32 v5, 0xa00, v97
	;; [unrolled: 1-line block ×3, first 2 shown]
	global_wb scope:SCOPE_SE
	s_wait_dscnt 0x0
	s_barrier_signal -1
	s_barrier_wait -1
	global_inv scope:SCOPE_SE
	ds_load_2addr_b64 v[8:11], v97 offset1:176
	ds_load_2addr_b64 v[16:19], v4 offset0:72 offset1:248
	ds_load_2addr_b64 v[4:7], v5 offset0:32 offset1:208
	;; [unrolled: 1-line block ×3, first 2 shown]
	ds_load_b64 v[20:21], v97 offset:5632
	ds_load_b64 v[22:23], v97 offset:13376
	s_and_saveexec_b32 s0, vcc_lo
	s_cbranch_execz .LBB0_9
; %bb.8:
	ds_load_b64 v[0:1], v97 offset:7040
	ds_load_b64 v[2:3], v97 offset:14784
.LBB0_9:
	s_wait_alu 0xfffe
	s_or_b32 exec_lo, exec_lo, s0
	v_and_b32_e32 v99, 1, v98
	s_delay_alu instid0(VALU_DEP_1)
	v_lshlrev_b32_e32 v30, 3, v99
	v_and_or_b32 v24, 0x3fc, v24, v99
	v_and_or_b32 v25, 0x1fc, v25, v99
	global_load_b64 v[89:90], v30, s[2:3]
	v_lshlrev_b32_e32 v109, 3, v24
	v_lshlrev_b32_e32 v110, 3, v25
	global_wb scope:SCOPE_SE
	s_wait_loadcnt_dscnt 0x0
	s_barrier_signal -1
	s_barrier_wait -1
	global_inv scope:SCOPE_SE
	v_mul_f32_e32 v24, v17, v90
	v_mul_f32_e32 v35, v22, v90
	;; [unrolled: 1-line block ×3, first 2 shown]
	v_lshlrev_b32_e32 v104, 1, v26
	v_mul_f32_e32 v37, v2, v90
	v_fma_f32 v16, v16, v89, -v24
	v_fmac_f32_e32 v35, v23, v89
	v_dual_mul_f32 v36, v3, v90 :: v_dual_fmac_f32 v25, v17, v89
	v_mul_f32_e32 v32, v15, v90
	v_fmac_f32_e32 v37, v3, v89
	v_mul_f32_e32 v31, v12, v90
	s_delay_alu instid0(VALU_DEP_4)
	v_fma_f32 v24, v2, v89, -v36
	v_dual_sub_f32 v3, v9, v25 :: v_dual_sub_f32 v2, v8, v16
	v_and_or_b32 v26, 0x7fc, v27, v99
	v_and_or_b32 v27, 0x7fc, v112, v99
	;; [unrolled: 1-line block ×3, first 2 shown]
	v_dual_mul_f32 v33, v14, v90 :: v_dual_sub_f32 v24, v0, v24
	s_delay_alu instid0(VALU_DEP_4) | instskip(NEXT) | instid1(VALU_DEP_4)
	v_lshlrev_b32_e32 v107, 3, v26
	v_dual_mul_f32 v27, v18, v90 :: v_dual_lshlrev_b32 v106, 3, v27
	v_dual_mul_f32 v26, v19, v90 :: v_dual_fmac_f32 v31, v13, v89
	v_mul_f32_e32 v34, v23, v90
	v_fmac_f32_e32 v33, v15, v89
	s_delay_alu instid0(VALU_DEP_4)
	v_fmac_f32_e32 v27, v19, v89
	v_fma_f32 v19, v14, v89, -v32
	v_lshlrev_b32_e32 v105, 3, v30
	v_mul_f32_e32 v30, v13, v90
	v_sub_f32_e32 v15, v5, v31
	v_fma_f32 v22, v22, v89, -v34
	v_fma_f32 v17, v18, v89, -v26
	v_sub_f32_e32 v25, v1, v37
	v_fma_f32 v18, v12, v89, -v30
	v_sub_f32_e32 v16, v6, v19
	v_dual_sub_f32 v22, v20, v22 :: v_dual_sub_f32 v23, v21, v35
	v_sub_f32_e32 v12, v10, v17
	s_delay_alu instid0(VALU_DEP_4)
	v_dual_sub_f32 v14, v4, v18 :: v_dual_sub_f32 v13, v11, v27
	v_sub_f32_e32 v17, v7, v33
	v_fma_f32 v8, v8, 2.0, -v2
	v_fma_f32 v9, v9, 2.0, -v3
	;; [unrolled: 1-line block ×12, first 2 shown]
	ds_store_2addr_b64 v110, v[8:9], v[2:3] offset1:2
	ds_store_2addr_b64 v109, v[10:11], v[12:13] offset1:2
	;; [unrolled: 1-line block ×5, first 2 shown]
	s_and_saveexec_b32 s0, vcc_lo
	s_cbranch_execz .LBB0_11
; %bb.10:
	v_and_or_b32 v0, 0x7fc, v104, v99
	s_delay_alu instid0(VALU_DEP_1)
	v_lshlrev_b32_e32 v0, 3, v0
	ds_store_2addr_b64 v0, v[26:27], v[24:25] offset1:2
.LBB0_11:
	s_wait_alu 0xfffe
	s_or_b32 exec_lo, exec_lo, s0
	v_add_nc_u32_e32 v0, 0xe00, v97
	v_add_nc_u32_e32 v1, 0x1c00, v97
	;; [unrolled: 1-line block ×3, first 2 shown]
	global_wb scope:SCOPE_SE
	s_wait_dscnt 0x0
	s_barrier_signal -1
	s_barrier_wait -1
	global_inv scope:SCOPE_SE
	ds_load_2addr_b64 v[4:7], v97 offset1:176
	ds_load_2addr_b64 v[16:19], v0 offset0:36 offset1:212
	ds_load_2addr_b64 v[12:15], v1 offset0:72 offset1:248
	;; [unrolled: 1-line block ×3, first 2 shown]
	v_cmp_gt_u16_e64 s0, 0x84, v98
	s_delay_alu instid0(VALU_DEP_1)
	s_and_saveexec_b32 s1, s0
	s_cbranch_execz .LBB0_13
; %bb.12:
	ds_load_b64 v[20:21], v97 offset:2816
	ds_load_b64 v[22:23], v97 offset:6688
	;; [unrolled: 1-line block ×4, first 2 shown]
.LBB0_13:
	s_wait_alu 0xfffe
	s_or_b32 exec_lo, exec_lo, s1
	v_and_b32_e32 v100, 3, v98
	s_delay_alu instid0(VALU_DEP_1)
	v_mad_co_u64_u32 v[30:31], null, v100, 24, s[2:3]
	s_clause 0x1
	global_load_b128 v[0:3], v[30:31], off offset:16
	global_load_b64 v[87:88], v[30:31], off offset:32
	v_lshlrev_b32_e32 v29, 2, v29
	v_lshlrev_b32_e32 v30, 2, v98
	v_lshlrev_b32_e32 v108, 2, v28
	global_wb scope:SCOPE_SE
	s_wait_loadcnt_dscnt 0x0
	s_barrier_signal -1
	s_barrier_wait -1
	global_inv scope:SCOPE_SE
	v_dual_mul_f32 v35, v19, v1 :: v_dual_mul_f32 v32, v12, v3
	v_and_or_b32 v29, 0x7f0, v29, v100
	v_dual_mul_f32 v31, v13, v3 :: v_dual_mul_f32 v36, v18, v1
	v_mul_f32_e32 v39, v11, v88
	s_delay_alu instid0(VALU_DEP_3)
	v_dual_mul_f32 v34, v8, v88 :: v_dual_lshlrev_b32 v111, 3, v29
	v_mul_f32_e32 v29, v17, v1
	v_and_or_b32 v30, 0x3f0, v30, v100
	v_dual_mul_f32 v33, v9, v88 :: v_dual_mul_f32 v38, v14, v3
	v_mul_f32_e32 v41, v23, v1
	v_dual_mul_f32 v28, v22, v1 :: v_dual_mul_f32 v45, v24, v88
	s_delay_alu instid0(VALU_DEP_4)
	v_dual_mul_f32 v43, v26, v3 :: v_dual_lshlrev_b32 v114, 3, v30
	v_mul_f32_e32 v44, v25, v88
	v_mul_f32_e32 v40, v10, v88
	v_dual_mul_f32 v30, v16, v1 :: v_dual_mul_f32 v37, v15, v3
	v_fma_f32 v16, v16, v0, -v29
	v_fma_f32 v12, v12, v2, -v31
	v_mul_f32_e32 v42, v27, v3
	v_dual_fmac_f32 v36, v19, v0 :: v_dual_fmac_f32 v45, v25, v87
	v_fmac_f32_e32 v38, v15, v2
	v_dual_fmac_f32 v34, v9, v87 :: v_dual_fmac_f32 v43, v27, v2
	v_fmac_f32_e32 v40, v11, v87
	v_fmac_f32_e32 v32, v13, v2
	v_fma_f32 v13, v8, v87, -v33
	v_fmac_f32_e32 v30, v17, v0
	v_fma_f32 v17, v18, v0, -v35
	v_fma_f32 v9, v14, v2, -v37
	;; [unrolled: 1-line block ×3, first 2 shown]
	v_sub_f32_e32 v13, v16, v13
	v_fma_f32 v8, v22, v0, -v41
	v_fma_f32 v14, v24, v87, -v44
	v_sub_f32_e32 v15, v4, v12
	v_fma_f32 v11, v26, v2, -v42
	v_fmac_f32_e32 v28, v23, v0
	v_sub_f32_e32 v24, v17, v10
	v_sub_f32_e32 v22, v6, v9
	v_fma_f32 v26, v4, 2.0, -v15
	v_sub_f32_e32 v9, v20, v11
	v_sub_f32_e32 v23, v7, v38
	;; [unrolled: 1-line block ×5, first 2 shown]
	v_fma_f32 v14, v16, 2.0, -v13
	v_sub_f32_e32 v18, v5, v32
	v_fma_f32 v16, v30, 2.0, -v19
	v_sub_f32_e32 v12, v28, v45
	v_sub_f32_e32 v4, v15, v19
	v_fma_f32 v29, v7, 2.0, -v23
	v_fma_f32 v27, v5, 2.0, -v18
	v_add_f32_e32 v5, v18, v13
	v_sub_f32_e32 v61, v9, v12
	v_fma_f32 v17, v17, 2.0, -v24
	v_fma_f32 v30, v36, 2.0, -v25
	v_add_f32_e32 v7, v23, v24
	v_fma_f32 v19, v6, 2.0, -v22
	v_dual_sub_f32 v10, v21, v43 :: v_dual_sub_f32 v13, v26, v14
	v_sub_f32_e32 v14, v27, v16
	v_sub_f32_e32 v6, v22, v25
	s_delay_alu instid0(VALU_DEP_4)
	v_sub_f32_e32 v17, v19, v17
	v_fma_f32 v16, v18, 2.0, -v5
	v_sub_f32_e32 v18, v29, v30
	v_add_f32_e32 v62, v10, v11
	v_fma_f32 v15, v15, 2.0, -v4
	v_fma_f32 v24, v26, 2.0, -v13
	;; [unrolled: 1-line block ×7, first 2 shown]
	ds_store_2addr_b64 v114, v[13:14], v[4:5] offset0:8 offset1:12
	ds_store_2addr_b64 v114, v[24:25], v[15:16] offset1:4
	ds_store_2addr_b64 v111, v[26:27], v[22:23] offset1:4
	ds_store_2addr_b64 v111, v[17:18], v[6:7] offset0:8 offset1:12
	s_and_saveexec_b32 s1, s0
	s_cbranch_execz .LBB0_15
; %bb.14:
	v_fma_f32 v13, v21, 2.0, -v10
	v_fma_f32 v4, v28, 2.0, -v12
	v_fma_f32 v12, v20, 2.0, -v9
	v_fma_f32 v6, v8, 2.0, -v11
	v_and_or_b32 v8, 0xff0, v108, v100
	v_fma_f32 v7, v10, 2.0, -v62
	s_delay_alu instid0(VALU_DEP_3) | instskip(SKIP_1) | instid1(VALU_DEP_4)
	v_dual_sub_f32 v5, v13, v4 :: v_dual_sub_f32 v4, v12, v6
	v_fma_f32 v6, v9, 2.0, -v61
	v_lshlrev_b32_e32 v10, 3, v8
	s_delay_alu instid0(VALU_DEP_3) | instskip(NEXT) | instid1(VALU_DEP_4)
	v_fma_f32 v9, v13, 2.0, -v5
	v_fma_f32 v8, v12, 2.0, -v4
	ds_store_2addr_b64 v10, v[8:9], v[6:7] offset1:4
	ds_store_2addr_b64 v10, v[4:5], v[61:62] offset0:8 offset1:12
.LBB0_15:
	s_wait_alu 0xfffe
	s_or_b32 exec_lo, exec_lo, s1
	v_and_b32_e32 v32, 15, v98
	global_wb scope:SCOPE_SE
	s_wait_dscnt 0x0
	s_barrier_signal -1
	s_barrier_wait -1
	global_inv scope:SCOPE_SE
	v_mad_co_u64_u32 v[12:13], null, 0x50, v32, s[2:3]
	v_lshrrev_b32_e32 v37, 4, v98
	v_mad_co_u64_u32 v[52:53], null, 0x50, v98, s[2:3]
	s_add_nc_u64 s[2:3], s[16:17], 0x3c80
	s_clause 0x4
	global_load_b128 v[20:23], v[12:13], off offset:112
	global_load_b128 v[16:19], v[12:13], off offset:128
	;; [unrolled: 1-line block ×5, first 2 shown]
	v_add_nc_u32_e32 v48, 0xa00, v97
	ds_load_2addr_b64 v[24:27], v97 offset1:176
	ds_load_b64 v[45:46], v97 offset:14080
	v_mul_u32_u24_e32 v47, 0xb0, v37
	ds_load_2addr_b64 v[28:31], v48 offset0:32 offset1:208
	v_add_nc_u32_e32 v49, 0x1400, v97
	v_or_b32_e32 v32, v47, v32
	s_wait_loadcnt_dscnt 0x402
	s_delay_alu instid0(VALU_DEP_1)
	v_dual_mul_f32 v32, v27, v21 :: v_dual_lshlrev_b32 v115, 3, v32
	s_wait_dscnt 0x0
	v_mul_f32_e32 v54, v29, v23
	ds_load_2addr_b64 v[33:36], v49 offset0:64 offset1:240
	v_add_nc_u32_e32 v50, 0x2c00, v97
	v_add_nc_u32_e32 v51, 0x2000, v97
	v_mul_f32_e32 v47, v26, v21
	v_mul_f32_e32 v55, v28, v23
	v_fma_f32 v26, v26, v20, -v32
	s_wait_loadcnt 0x0
	v_mul_f32_e32 v119, v46, v15
	v_dual_mul_f32 v120, v45, v15 :: v_dual_fmac_f32 v47, v27, v20
	v_fma_f32 v27, v28, v22, -v54
	v_fmac_f32_e32 v55, v29, v22
	s_delay_alu instid0(VALU_DEP_4) | instskip(NEXT) | instid1(VALU_DEP_4)
	v_fma_f32 v45, v45, v14, -v119
	v_fmac_f32_e32 v120, v46, v14
	s_wait_dscnt 0x0
	v_mul_f32_e32 v58, v34, v19
	v_mul_f32_e32 v59, v33, v19
	ds_load_2addr_b64 v[41:44], v50 offset1:176
	ds_load_2addr_b64 v[37:40], v51 offset0:32 offset1:208
	v_mul_f32_e32 v60, v36, v9
	v_mul_f32_e32 v91, v35, v9
	v_mul_f32_e32 v56, v31, v17
	v_mul_f32_e32 v57, v30, v17
	v_fma_f32 v29, v33, v18, -v58
	global_wb scope:SCOPE_SE
	s_wait_dscnt 0x0
	s_barrier_signal -1
	s_barrier_wait -1
	global_inv scope:SCOPE_SE
	v_dual_mul_f32 v116, v41, v7 :: v_dual_mul_f32 v117, v44, v13
	v_mul_f32_e32 v92, v38, v11
	v_dual_mul_f32 v93, v37, v11 :: v_dual_mul_f32 v94, v40, v5
	v_dual_mul_f32 v95, v39, v5 :: v_dual_mul_f32 v96, v42, v7
	v_dual_mul_f32 v118, v43, v13 :: v_dual_fmac_f32 v91, v36, v8
	v_fma_f32 v28, v30, v16, -v56
	v_dual_fmac_f32 v57, v31, v16 :: v_dual_fmac_f32 v116, v42, v6
	s_delay_alu instid0(VALU_DEP_3)
	v_dual_fmac_f32 v59, v34, v18 :: v_dual_fmac_f32 v118, v44, v12
	v_fma_f32 v30, v35, v8, -v60
	v_fma_f32 v31, v37, v10, -v92
	v_dual_fmac_f32 v93, v38, v10 :: v_dual_sub_f32 v38, v47, v120
	v_fma_f32 v32, v39, v4, -v94
	v_dual_fmac_f32 v95, v40, v4 :: v_dual_add_f32 v36, v26, v45
	v_fma_f32 v33, v41, v6, -v96
	v_fma_f32 v42, v43, v12, -v117
	v_dual_add_f32 v34, v24, v26 :: v_dual_add_f32 v35, v25, v47
	v_dual_add_f32 v37, v47, v120 :: v_dual_sub_f32 v26, v26, v45
	s_delay_alu instid0(VALU_DEP_4) | instskip(NEXT) | instid1(VALU_DEP_4)
	v_dual_add_f32 v40, v55, v118 :: v_dual_sub_f32 v47, v28, v33
	v_dual_sub_f32 v41, v27, v42 :: v_dual_add_f32 v46, v57, v116
	v_dual_sub_f32 v43, v55, v118 :: v_dual_sub_f32 v54, v57, v116
	v_dual_add_f32 v56, v29, v32 :: v_dual_sub_f32 v117, v30, v31
	s_delay_alu instid0(VALU_DEP_3) | instskip(NEXT) | instid1(VALU_DEP_3)
	v_dual_mul_f32 v125, 0xbf4178ce, v38 :: v_dual_mul_f32 v130, 0xbf4178ce, v41
	v_dual_mul_f32 v126, 0xbf4178ce, v26 :: v_dual_mul_f32 v129, 0xbf4178ce, v43
	v_dual_add_f32 v39, v27, v42 :: v_dual_add_f32 v44, v28, v33
	v_sub_f32_e32 v58, v59, v95
	v_dual_sub_f32 v60, v29, v32 :: v_dual_add_f32 v119, v91, v93
	v_add_f32_e32 v92, v59, v95
	v_dual_sub_f32 v94, v91, v93 :: v_dual_add_f32 v27, v34, v27
	v_dual_add_f32 v96, v30, v31 :: v_dual_mul_f32 v121, 0xbf68dda4, v38
	v_dual_add_f32 v34, v35, v55 :: v_dual_mul_f32 v123, 0xbf7d64f0, v38
	v_mul_f32_e32 v35, 0xbf0a6770, v38
	v_mul_f32_e32 v55, 0xbf0a6770, v26
	v_dual_mul_f32 v122, 0xbf68dda4, v26 :: v_dual_mul_f32 v127, 0xbf68dda4, v43
	v_mul_f32_e32 v124, 0xbf7d64f0, v26
	v_dual_mul_f32 v26, 0xbe903f40, v26 :: v_dual_add_f32 v27, v27, v28
	v_dual_mul_f32 v131, 0x3e903f40, v43 :: v_dual_mul_f32 v132, 0x3e903f40, v41
	v_dual_mul_f32 v141, 0xbf0a6770, v54 :: v_dual_mul_f32 v142, 0xbf0a6770, v47
	v_fma_f32 v163, 0xbf27a4f4, v36, -v125
	v_dual_fmamk_f32 v164, v37, 0xbf27a4f4, v126 :: v_dual_fmac_f32 v125, 0xbf27a4f4, v36
	v_mul_f32_e32 v156, 0x3f0a6770, v117
	v_dual_mul_f32 v38, 0xbe903f40, v38 :: v_dual_mul_f32 v155, 0xbe903f40, v117
	v_dual_mul_f32 v133, 0x3f7d64f0, v43 :: v_dual_mul_f32 v134, 0x3f7d64f0, v41
	;; [unrolled: 1-line block ×7, first 2 shown]
	v_dual_mul_f32 v143, 0xbf4178ce, v58 :: v_dual_add_f32 v28, v34, v57
	v_mul_f32_e32 v149, 0xbf0a6770, v60
	v_dual_mul_f32 v150, 0xbe903f40, v60 :: v_dual_mul_f32 v151, 0xbe903f40, v94
	v_fma_f32 v34, 0x3f575c64, v36, -v35
	v_dual_fmamk_f32 v57, v37, 0x3f575c64, v55 :: v_dual_fmamk_f32 v180, v46, 0x3f575c64, v142
	v_mul_f32_e32 v144, 0x3f7d64f0, v58
	v_dual_fmac_f32 v35, 0x3f575c64, v36 :: v_dual_fmamk_f32 v194, v119, 0x3f575c64, v156
	v_mul_f32_e32 v128, 0xbf68dda4, v41
	v_dual_mul_f32 v41, 0x3f0a6770, v41 :: v_dual_add_f32 v34, v24, v34
	v_fma_f32 v55, 0x3f575c64, v37, -v55
	v_mul_f32_e32 v146, 0xbe903f40, v58
	v_fma_f32 v159, 0x3ed4b147, v36, -v121
	v_dual_fmamk_f32 v160, v37, 0x3ed4b147, v122 :: v_dual_fmac_f32 v121, 0x3ed4b147, v36
	v_mul_f32_e32 v148, 0x3f7d64f0, v60
	v_mul_f32_e32 v154, 0x3f68dda4, v94
	v_fma_f32 v122, 0x3ed4b147, v37, -v122
	v_mul_f32_e32 v147, 0xbf4178ce, v60
	v_fma_f32 v161, 0xbe11bafb, v36, -v123
	v_mul_f32_e32 v145, 0xbf0a6770, v58
	v_mul_f32_e32 v58, 0x3f68dda4, v58
	v_fmac_f32_e32 v123, 0xbe11bafb, v36
	v_fma_f32 v126, 0xbf27a4f4, v37, -v126
	v_mul_f32_e32 v157, 0xbf4178ce, v117
	v_fmamk_f32 v166, v37, 0xbf75a155, v26
	v_fma_f32 v169, 0xbf75a155, v39, -v131
	v_fmac_f32_e32 v131, 0xbf75a155, v39
	v_mul_f32_e32 v158, 0x3f68dda4, v117
	v_mul_f32_e32 v117, 0xbf7d64f0, v117
	v_fmamk_f32 v162, v37, 0xbe11bafb, v124
	v_mul_f32_e32 v60, 0x3f68dda4, v60
	v_fma_f32 v124, 0xbe11bafb, v37, -v124
	v_mul_f32_e32 v153, 0xbf4178ce, v94
	v_dual_mul_f32 v94, 0xbf7d64f0, v94 :: v_dual_add_f32 v123, v24, v123
	v_fma_f32 v165, 0xbf75a155, v36, -v38
	v_dual_fmac_f32 v38, 0xbf75a155, v36 :: v_dual_add_f32 v125, v24, v125
	v_fma_f32 v26, 0xbf75a155, v37, -v26
	v_fma_f32 v36, 0x3ed4b147, v39, -v127
	v_dual_fmac_f32 v127, 0x3ed4b147, v39 :: v_dual_fmamk_f32 v178, v46, 0x3ed4b147, v140
	v_fma_f32 v167, 0xbf27a4f4, v39, -v129
	v_dual_fmamk_f32 v168, v40, 0xbf27a4f4, v130 :: v_dual_fmac_f32 v129, 0xbf27a4f4, v39
	v_fma_f32 v130, 0xbf27a4f4, v40, -v130
	v_fmamk_f32 v170, v40, 0xbf75a155, v132
	v_fma_f32 v132, 0xbf75a155, v40, -v132
	v_fma_f32 v171, 0xbe11bafb, v39, -v133
	v_dual_fmamk_f32 v172, v40, 0xbe11bafb, v134 :: v_dual_fmac_f32 v133, 0xbe11bafb, v39
	v_fma_f32 v134, 0xbe11bafb, v40, -v134
	v_fma_f32 v173, 0x3f575c64, v39, -v43
	v_dual_fmamk_f32 v174, v40, 0x3f575c64, v41 :: v_dual_add_f32 v27, v27, v29
	v_fmac_f32_e32 v43, 0x3f575c64, v39
	v_fma_f32 v39, 0x3f575c64, v40, -v41
	v_fmamk_f32 v41, v46, 0xbe11bafb, v136
	v_fma_f32 v136, 0xbe11bafb, v46, -v136
	v_fma_f32 v175, 0xbf75a155, v44, -v137
	v_dual_fmamk_f32 v176, v46, 0xbf75a155, v138 :: v_dual_fmac_f32 v137, 0xbf75a155, v44
	v_fma_f32 v138, 0xbf75a155, v46, -v138
	v_fma_f32 v177, 0x3ed4b147, v44, -v139
	;; [unrolled: 1-line block ×4, first 2 shown]
	v_dual_fmac_f32 v141, 0x3f575c64, v44 :: v_dual_add_f32 v28, v28, v59
	v_fma_f32 v142, 0x3f575c64, v46, -v142
	v_fma_f32 v181, 0xbf27a4f4, v44, -v54
	;; [unrolled: 1-line block ×3, first 2 shown]
	v_fmac_f32_e32 v145, 0x3f575c64, v56
	v_fma_f32 v185, 0x3ed4b147, v56, -v58
	v_fmamk_f32 v188, v92, 0xbf75a155, v150
	v_fma_f32 v150, 0xbf75a155, v92, -v150
	v_fma_f32 v190, 0x3f575c64, v96, -v152
	v_fmac_f32_e32 v152, 0x3f575c64, v96
	v_fma_f32 v192, 0x3ed4b147, v96, -v154
	v_fmac_f32_e32 v154, 0x3ed4b147, v96
	;; [unrolled: 2-line block ×3, first 2 shown]
	v_fma_f32 v156, 0x3f575c64, v119, -v156
	v_fmamk_f32 v197, v119, 0xbe11bafb, v117
	v_fma_f32 v117, 0xbe11bafb, v119, -v117
	v_add_f32_e32 v57, v25, v57
	v_fma_f32 v182, 0xbe11bafb, v56, -v144
	v_dual_fmac_f32 v144, 0xbe11bafb, v56 :: v_dual_add_f32 v35, v24, v35
	v_fmamk_f32 v37, v40, 0x3ed4b147, v128
	v_fma_f32 v128, 0x3ed4b147, v40, -v128
	v_fma_f32 v40, 0xbe11bafb, v44, -v135
	v_fmamk_f32 v187, v92, 0x3f575c64, v149
	v_fma_f32 v149, 0x3f575c64, v92, -v149
	v_fmamk_f32 v189, v92, 0x3ed4b147, v60
	v_fma_f32 v60, 0x3ed4b147, v92, -v60
	v_add_f32_e32 v55, v25, v55
	v_fma_f32 v184, 0xbf75a155, v56, -v146
	v_fmac_f32_e32 v146, 0xbf75a155, v56
	v_dual_fmac_f32 v58, 0x3ed4b147, v56 :: v_dual_add_f32 v121, v24, v121
	v_dual_fmac_f32 v135, 0xbe11bafb, v44 :: v_dual_fmamk_f32 v186, v92, 0xbe11bafb, v148
	v_fma_f32 v148, 0xbe11bafb, v92, -v148
	v_add_f32_e32 v122, v25, v122
	v_add_f32_e32 v124, v25, v124
	v_fma_f32 v191, 0xbf27a4f4, v96, -v153
	v_dual_fmac_f32 v153, 0xbf27a4f4, v96 :: v_dual_add_f32 v126, v25, v126
	v_dual_fmac_f32 v54, 0xbf27a4f4, v44 :: v_dual_fmamk_f32 v195, v119, 0xbf27a4f4, v157
	v_fma_f32 v157, 0xbf27a4f4, v119, -v157
	v_add_f32_e32 v29, v25, v166
	v_dual_fmac_f32 v139, 0x3ed4b147, v44 :: v_dual_fmamk_f32 v196, v119, 0x3ed4b147, v158
	v_fmamk_f32 v44, v46, 0xbf27a4f4, v47
	v_fma_f32 v46, 0xbf27a4f4, v46, -v47
	v_fma_f32 v47, 0xbf27a4f4, v56, -v143
	v_fmac_f32_e32 v143, 0xbf27a4f4, v56
	v_fmamk_f32 v56, v92, 0xbf27a4f4, v147
	v_fma_f32 v147, 0xbf27a4f4, v92, -v147
	v_fma_f32 v92, 0xbf75a155, v96, -v151
	v_fmac_f32_e32 v151, 0xbf75a155, v96
	v_fmamk_f32 v96, v119, 0xbf75a155, v155
	v_fma_f32 v155, 0xbf75a155, v119, -v155
	v_fma_f32 v158, 0x3ed4b147, v119, -v158
	v_add_f32_e32 v119, v24, v159
	v_dual_add_f32 v159, v25, v160 :: v_dual_add_f32 v160, v24, v161
	v_dual_add_f32 v161, v25, v162 :: v_dual_add_f32 v162, v24, v163
	;; [unrolled: 1-line block ×3, first 2 shown]
	v_add_f32_e32 v24, v24, v38
	v_add_f32_e32 v25, v25, v26
	v_dual_add_f32 v26, v27, v30 :: v_dual_add_f32 v27, v28, v91
	v_add_f32_e32 v28, v36, v34
	v_add_f32_e32 v34, v127, v35
	v_add_f32_e32 v35, v128, v55
	v_dual_add_f32 v36, v167, v119 :: v_dual_add_f32 v119, v132, v124
	v_dual_add_f32 v30, v37, v57 :: v_dual_add_f32 v37, v168, v159
	;; [unrolled: 1-line block ×3, first 2 shown]
	v_add_f32_e32 v55, v130, v122
	v_add_f32_e32 v57, v169, v160
	;; [unrolled: 1-line block ×3, first 2 shown]
	v_dual_add_f32 v121, v171, v162 :: v_dual_add_f32 v122, v172, v163
	v_dual_add_f32 v123, v133, v125 :: v_dual_add_f32 v124, v134, v126
	;; [unrolled: 1-line block ×16, first 2 shown]
	v_add_f32_e32 v27, v27, v95
	v_add_f32_e32 v29, v44, v29
	;; [unrolled: 1-line block ×4, first 2 shown]
	v_dual_add_f32 v31, v143, v31 :: v_dual_add_f32 v44, v188, v57
	v_dual_add_f32 v35, v186, v36 :: v_dual_add_f32 v54, v185, v93
	v_add_f32_e32 v36, v144, v37
	v_dual_add_f32 v37, v148, v38 :: v_dual_add_f32 v46, v146, v59
	v_add_f32_e32 v38, v183, v39
	v_dual_add_f32 v39, v187, v40 :: v_dual_add_f32 v40, v145, v41
	v_dual_add_f32 v41, v149, v43 :: v_dual_add_f32 v56, v58, v24
	;; [unrolled: 1-line block ×3, first 2 shown]
	v_add_f32_e32 v24, v92, v28
	v_dual_add_f32 v28, v190, v34 :: v_dual_add_f32 v59, v27, v116
	v_dual_add_f32 v55, v189, v29 :: v_dual_add_f32 v26, v151, v31
	v_add_f32_e32 v47, v150, v91
	v_add_f32_e32 v57, v60, v25
	v_dual_add_f32 v25, v96, v30 :: v_dual_add_f32 v34, v153, v40
	v_add_f32_e32 v27, v155, v32
	v_dual_add_f32 v29, v194, v35 :: v_dual_add_f32 v40, v193, v54
	;; [unrolled: 2-line block ×4, first 2 shown]
	v_dual_add_f32 v37, v196, v44 :: v_dual_add_f32 v38, v154, v46
	v_add_f32_e32 v44, v58, v42
	v_dual_add_f32 v46, v59, v118 :: v_dual_add_f32 v41, v197, v55
	v_add_f32_e32 v39, v158, v47
	v_dual_add_f32 v42, v94, v56 :: v_dual_add_f32 v43, v117, v57
	ds_store_2addr_b64 v115, v[28:29], v[32:33] offset0:32 offset1:48
	v_dual_add_f32 v28, v44, v45 :: v_dual_add_f32 v29, v46, v120
	ds_store_2addr_b64 v115, v[36:37], v[40:41] offset0:64 offset1:80
	ds_store_2addr_b64 v115, v[42:43], v[38:39] offset0:96 offset1:112
	;; [unrolled: 1-line block ×3, first 2 shown]
	ds_store_b64 v115, v[26:27] offset:1280
	ds_store_2addr_b64 v115, v[28:29], v[24:25] offset1:16
	global_wb scope:SCOPE_SE
	s_wait_dscnt 0x0
	s_barrier_signal -1
	s_barrier_wait -1
	global_inv scope:SCOPE_SE
	s_clause 0x4
	global_load_b128 v[40:43], v[52:53], off offset:1392
	global_load_b128 v[36:39], v[52:53], off offset:1408
	;; [unrolled: 1-line block ×5, first 2 shown]
	ds_load_2addr_b64 v[44:47], v97 offset1:176
	ds_load_2addr_b64 v[116:119], v48 offset0:32 offset1:208
	ds_load_2addr_b64 v[120:123], v49 offset0:64 offset1:240
	;; [unrolled: 1-line block ×3, first 2 shown]
	ds_load_2addr_b64 v[128:131], v50 offset1:176
	ds_load_b64 v[132:133], v97 offset:14080
	s_wait_loadcnt_dscnt 0x404
	v_mul_f32_e32 v58, v117, v43
	v_mul_f32_e32 v56, v47, v41
	v_dual_mul_f32 v134, v46, v41 :: v_dual_mul_f32 v135, v116, v43
	s_wait_loadcnt_dscnt 0x0
	v_dual_mul_f32 v139, v131, v33 :: v_dual_mul_f32 v140, v133, v35
	v_dual_mul_f32 v52, v130, v33 :: v_dual_mul_f32 v53, v132, v35
	;; [unrolled: 1-line block ×3, first 2 shown]
	v_mul_f32_e32 v94, v118, v37
	v_mul_f32_e32 v60, v120, v39
	v_dual_mul_f32 v96, v123, v29 :: v_dual_mul_f32 v57, v124, v31
	v_dual_mul_f32 v59, v122, v29 :: v_dual_mul_f32 v136, v125, v31
	;; [unrolled: 1-line block ×4, first 2 shown]
	v_fma_f32 v141, v46, v40, -v56
	v_dual_fmac_f32 v134, v47, v40 :: v_dual_fmac_f32 v135, v117, v42
	v_fma_f32 v46, v132, v34, -v140
	v_dual_fmac_f32 v53, v133, v34 :: v_dual_fmac_f32 v52, v131, v32
	v_fma_f32 v142, v116, v42, -v58
	v_fma_f32 v95, v118, v36, -v91
	v_dual_fmac_f32 v94, v119, v36 :: v_dual_fmac_f32 v57, v125, v30
	v_fma_f32 v93, v120, v38, -v92
	v_dual_fmac_f32 v60, v121, v38 :: v_dual_fmac_f32 v59, v123, v28
	v_fma_f32 v92, v122, v28, -v96
	v_fma_f32 v91, v124, v30, -v136
	v_dual_fmac_f32 v55, v127, v24 :: v_dual_fmac_f32 v54, v129, v26
	v_fma_f32 v56, v128, v26, -v138
	v_fma_f32 v47, v130, v32, -v139
	v_dual_add_f32 v117, v44, v141 :: v_dual_add_f32 v118, v45, v134
	v_dual_add_f32 v116, v134, v53 :: v_dual_sub_f32 v119, v141, v46
	s_delay_alu instid0(VALU_DEP_4)
	v_dual_sub_f32 v120, v134, v53 :: v_dual_add_f32 v125, v95, v56
	v_fma_f32 v58, v126, v24, -v137
	v_dual_add_f32 v96, v141, v46 :: v_dual_add_f32 v121, v142, v47
	v_dual_add_f32 v122, v135, v52 :: v_dual_sub_f32 v123, v142, v47
	v_dual_sub_f32 v124, v135, v52 :: v_dual_sub_f32 v129, v60, v55
	v_dual_sub_f32 v126, v94, v54 :: v_dual_sub_f32 v127, v95, v56
	v_dual_add_f32 v134, v92, v91 :: v_dual_add_f32 v117, v117, v142
	v_sub_f32_e32 v136, v92, v91
	v_dual_add_f32 v118, v118, v135 :: v_dual_mul_f32 v139, 0xbf68dda4, v120
	v_dual_mul_f32 v135, 0xbf0a6770, v120 :: v_dual_mul_f32 v138, 0xbf0a6770, v119
	v_mul_f32_e32 v163, 0xbf0a6770, v129
	v_dual_mul_f32 v140, 0xbf68dda4, v119 :: v_dual_mul_f32 v145, 0xbf68dda4, v124
	v_dual_add_f32 v128, v94, v54 :: v_dual_sub_f32 v133, v59, v57
	v_dual_add_f32 v130, v93, v58 :: v_dual_add_f32 v137, v59, v57
	v_dual_sub_f32 v131, v93, v58 :: v_dual_add_f32 v132, v60, v55
	v_dual_mul_f32 v141, 0xbf7d64f0, v120 :: v_dual_mul_f32 v142, 0xbf7d64f0, v119
	v_dual_mul_f32 v143, 0xbf4178ce, v120 :: v_dual_mul_f32 v144, 0xbf4178ce, v119
	;; [unrolled: 1-line block ×6, first 2 shown]
	v_mul_f32_e32 v124, 0x3f0a6770, v124
	v_mul_f32_e32 v153, 0xbf7d64f0, v126
	v_dual_mul_f32 v154, 0x3e903f40, v126 :: v_dual_add_f32 v95, v117, v95
	v_dual_mul_f32 v155, 0x3f68dda4, v126 :: v_dual_mul_f32 v172, 0x3f68dda4, v133
	v_dual_mul_f32 v156, 0xbf0a6770, v126 :: v_dual_mul_f32 v167, 0xbf0a6770, v131
	v_mul_f32_e32 v126, 0xbf4178ce, v126
	v_dual_mul_f32 v157, 0xbf7d64f0, v127 :: v_dual_add_f32 v94, v118, v94
	v_dual_mul_f32 v159, 0x3f68dda4, v127 :: v_dual_mul_f32 v176, 0x3f68dda4, v136
	v_fma_f32 v177, 0x3f575c64, v96, -v135
	v_mul_f32_e32 v146, 0xbf68dda4, v123
	v_mul_f32_e32 v123, 0x3f0a6770, v123
	v_dual_fmamk_f32 v178, v116, 0x3f575c64, v138 :: v_dual_fmac_f32 v135, 0x3f575c64, v96
	v_mul_f32_e32 v158, 0x3e903f40, v127
	v_fma_f32 v138, 0x3f575c64, v116, -v138
	v_mul_f32_e32 v161, 0xbf4178ce, v129
	v_fma_f32 v179, 0x3ed4b147, v96, -v139
	v_dual_fmamk_f32 v180, v116, 0x3ed4b147, v140 :: v_dual_fmac_f32 v139, 0x3ed4b147, v96
	v_mul_f32_e32 v160, 0xbf0a6770, v127
	v_mul_f32_e32 v127, 0xbf4178ce, v127
	v_dual_mul_f32 v162, 0x3f7d64f0, v129 :: v_dual_add_f32 v135, v44, v135
	v_dual_mul_f32 v164, 0xbe903f40, v129 :: v_dual_mul_f32 v173, 0xbe903f40, v136
	v_mul_f32_e32 v129, 0x3f68dda4, v129
	v_dual_mul_f32 v168, 0xbe903f40, v131 :: v_dual_mul_f32 v169, 0xbe903f40, v133
	v_dual_mul_f32 v170, 0x3f0a6770, v133 :: v_dual_add_f32 v139, v44, v139
	v_fma_f32 v140, 0x3ed4b147, v116, -v140
	v_mul_f32_e32 v165, 0xbf4178ce, v131
	v_fma_f32 v181, 0xbe11bafb, v96, -v141
	v_dual_fmamk_f32 v182, v116, 0xbe11bafb, v142 :: v_dual_fmac_f32 v141, 0xbe11bafb, v96
	v_mul_f32_e32 v166, 0x3f7d64f0, v131
	v_mul_f32_e32 v131, 0x3f68dda4, v131
	;; [unrolled: 1-line block ×3, first 2 shown]
	v_fma_f32 v142, 0xbe11bafb, v116, -v142
	v_add_f32_e32 v141, v44, v141
	v_mul_f32_e32 v171, 0xbf4178ce, v133
	v_fma_f32 v183, 0xbf27a4f4, v96, -v143
	v_mul_f32_e32 v133, 0xbf7d64f0, v133
	v_dual_fmamk_f32 v184, v116, 0xbf27a4f4, v144 :: v_dual_fmac_f32 v143, 0xbf27a4f4, v96
	v_fma_f32 v144, 0xbf27a4f4, v116, -v144
	v_fma_f32 v185, 0xbf75a155, v96, -v120
	v_mul_f32_e32 v175, 0xbf4178ce, v136
	v_mul_f32_e32 v136, 0xbf7d64f0, v136
	v_fmamk_f32 v186, v116, 0xbf75a155, v119
	v_fmac_f32_e32 v120, 0xbf75a155, v96
	v_fma_f32 v96, 0xbf75a155, v116, -v119
	v_fma_f32 v116, 0x3ed4b147, v121, -v145
	v_fmamk_f32 v119, v122, 0x3ed4b147, v146
	v_fmac_f32_e32 v145, 0x3ed4b147, v121
	v_fma_f32 v146, 0x3ed4b147, v122, -v146
	v_fma_f32 v187, 0xbf27a4f4, v121, -v147
	v_dual_fmamk_f32 v188, v122, 0xbf27a4f4, v148 :: v_dual_fmac_f32 v147, 0xbf27a4f4, v121
	v_fma_f32 v148, 0xbf27a4f4, v122, -v148
	v_fma_f32 v189, 0xbf75a155, v121, -v149
	v_dual_fmamk_f32 v190, v122, 0xbf75a155, v150 :: v_dual_fmac_f32 v149, 0xbf75a155, v121
	;; [unrolled: 3-line block ×3, first 2 shown]
	v_fma_f32 v152, 0xbe11bafb, v122, -v152
	v_fma_f32 v193, 0x3f575c64, v121, -v124
	v_dual_fmamk_f32 v194, v122, 0x3f575c64, v123 :: v_dual_add_f32 v143, v44, v143
	v_fmac_f32_e32 v124, 0x3f575c64, v121
	v_fma_f32 v121, 0x3f575c64, v122, -v123
	v_fma_f32 v122, 0xbe11bafb, v125, -v153
	v_fmac_f32_e32 v153, 0xbe11bafb, v125
	v_fma_f32 v123, 0xbf75a155, v125, -v154
	v_fmac_f32_e32 v154, 0xbf75a155, v125
	v_fma_f32 v195, 0x3ed4b147, v125, -v155
	v_dual_fmac_f32 v155, 0x3ed4b147, v125 :: v_dual_fmamk_f32 v214, v137, 0x3ed4b147, v176
	v_fma_f32 v196, 0x3f575c64, v125, -v156
	v_dual_fmac_f32 v156, 0x3f575c64, v125 :: v_dual_fmamk_f32 v205, v132, 0x3f575c64, v167
	;; [unrolled: 2-line block ×3, first 2 shown]
	v_dual_fmamk_f32 v117, v128, 0xbe11bafb, v157 :: v_dual_add_f32 v144, v45, v144
	v_fma_f32 v118, 0xbe11bafb, v128, -v157
	v_fmamk_f32 v125, v128, 0xbf75a155, v158
	v_fma_f32 v157, 0xbf75a155, v128, -v158
	v_fmamk_f32 v158, v128, 0x3ed4b147, v159
	v_fma_f32 v159, 0x3ed4b147, v128, -v159
	v_dual_fmamk_f32 v198, v128, 0x3f575c64, v160 :: v_dual_add_f32 v93, v95, v93
	v_fma_f32 v160, 0x3f575c64, v128, -v160
	v_fma_f32 v127, 0xbf27a4f4, v128, -v127
	v_add_f32_e32 v138, v45, v138
	v_fma_f32 v128, 0xbf27a4f4, v130, -v161
	v_dual_fmac_f32 v161, 0xbf27a4f4, v130 :: v_dual_add_f32 v60, v94, v60
	v_fma_f32 v200, 0xbe11bafb, v130, -v162
	v_fmac_f32_e32 v162, 0xbe11bafb, v130
	v_fma_f32 v201, 0x3f575c64, v130, -v163
	v_fmac_f32_e32 v163, 0x3f575c64, v130
	v_fma_f32 v202, 0xbf75a155, v130, -v164
	v_dual_fmac_f32 v164, 0xbf75a155, v130 :: v_dual_add_f32 v59, v60, v59
	v_fma_f32 v203, 0x3ed4b147, v130, -v129
	v_fmac_f32_e32 v129, 0x3ed4b147, v130
	v_fmamk_f32 v204, v132, 0xbe11bafb, v166
	v_fma_f32 v166, 0xbe11bafb, v132, -v166
	v_fma_f32 v167, 0x3f575c64, v132, -v167
	v_fmamk_f32 v207, v132, 0x3ed4b147, v131
	v_fma_f32 v131, 0x3ed4b147, v132, -v131
	v_fma_f32 v208, 0x3f575c64, v134, -v170
	v_fmac_f32_e32 v170, 0x3f575c64, v134
	v_fma_f32 v210, 0x3ed4b147, v134, -v172
	v_fmac_f32_e32 v172, 0x3ed4b147, v134
	v_dual_fmamk_f32 v206, v132, 0xbf75a155, v168 :: v_dual_add_f32 v95, v145, v135
	v_fma_f32 v168, 0xbf75a155, v132, -v168
	v_fma_f32 v211, 0xbe11bafb, v134, -v133
	v_fmac_f32_e32 v133, 0xbe11bafb, v134
	v_fmamk_f32 v213, v137, 0xbf27a4f4, v175
	v_fma_f32 v175, 0xbf27a4f4, v137, -v175
	v_fma_f32 v176, 0x3ed4b147, v137, -v176
	v_fmamk_f32 v215, v137, 0xbe11bafb, v136
	v_fma_f32 v136, 0xbe11bafb, v137, -v136
	v_add_f32_e32 v140, v45, v140
	v_fmamk_f32 v130, v132, 0xbf27a4f4, v165
	v_fma_f32 v165, 0xbf27a4f4, v132, -v165
	v_fma_f32 v132, 0xbf75a155, v134, -v169
	v_fmac_f32_e32 v169, 0xbf75a155, v134
	v_dual_fmamk_f32 v212, v137, 0x3f575c64, v174 :: v_dual_add_f32 v135, v148, v140
	v_fma_f32 v174, 0x3f575c64, v137, -v174
	v_add_f32_e32 v142, v45, v142
	v_fma_f32 v209, 0xbf27a4f4, v134, -v171
	v_dual_fmac_f32 v171, 0xbf27a4f4, v134 :: v_dual_add_f32 v92, v93, v92
	v_fmamk_f32 v134, v137, 0xbf75a155, v173
	v_fma_f32 v173, 0xbf75a155, v137, -v173
	v_add_f32_e32 v137, v44, v177
	v_dual_add_f32 v177, v45, v178 :: v_dual_add_f32 v178, v44, v179
	v_dual_add_f32 v179, v45, v180 :: v_dual_add_f32 v180, v44, v181
	;; [unrolled: 1-line block ×4, first 2 shown]
	v_add_f32_e32 v94, v45, v186
	v_add_f32_e32 v44, v44, v120
	v_dual_add_f32 v45, v45, v96 :: v_dual_add_f32 v60, v116, v137
	v_dual_add_f32 v93, v119, v177 :: v_dual_add_f32 v96, v146, v138
	;; [unrolled: 1-line block ×3, first 2 shown]
	v_add_f32_e32 v119, v188, v179
	v_dual_add_f32 v120, v147, v139 :: v_dual_add_f32 v139, v149, v141
	v_dual_add_f32 v138, v190, v181 :: v_dual_add_f32 v141, v191, v182
	;; [unrolled: 1-line block ×18, first 2 shown]
	v_add_f32_e32 v57, v128, v59
	v_add_f32_e32 v59, v130, v60
	;; [unrolled: 1-line block ×3, first 2 shown]
	v_dual_add_f32 v92, v165, v93 :: v_dual_add_f32 v93, v200, v95
	v_add_f32_e32 v95, v204, v96
	v_add_f32_e32 v96, v162, v116
	v_dual_add_f32 v116, v166, v117 :: v_dual_add_f32 v117, v201, v118
	v_dual_add_f32 v118, v205, v119 :: v_dual_add_f32 v119, v163, v120
	;; [unrolled: 1-line block ×8, first 2 shown]
	v_add_f32_e32 v54, v208, v93
	v_dual_add_f32 v92, v173, v92 :: v_dual_add_f32 v55, v212, v95
	s_delay_alu instid0(VALU_DEP_4) | instskip(SKIP_3) | instid1(VALU_DEP_3)
	v_dual_add_f32 v95, v210, v121 :: v_dual_add_f32 v60, v129, v52
	v_dual_add_f32 v47, v128, v47 :: v_dual_add_f32 v52, v211, v125
	;; [unrolled: 1-line block ×6, first 2 shown]
	v_add_f32_e32 v59, v213, v118
	v_dual_add_f32 v93, v171, v119 :: v_dual_add_f32 v96, v214, v122
	v_dual_add_f32 v116, v172, v123 :: v_dual_add_f32 v53, v215, v94
	;; [unrolled: 1-line block ×3, first 2 shown]
	v_add_f32_e32 v94, v175, v120
	ds_store_2addr_b64 v97, v[46:47], v[44:45] offset1:176
	ds_store_2addr_b64 v48, v[54:55], v[58:59] offset0:32 offset1:208
	ds_store_2addr_b64 v49, v[95:96], v[52:53] offset0:64 offset1:240
	ds_store_2addr_b64 v51, v[118:119], v[116:117] offset0:32 offset1:208
	ds_store_2addr_b64 v50, v[93:94], v[56:57] offset1:176
	ds_store_b64 v97, v[91:92] offset:14080
	global_wb scope:SCOPE_SE
	s_wait_dscnt 0x0
	s_barrier_signal -1
	s_barrier_wait -1
	global_inv scope:SCOPE_SE
	s_clause 0x9
	global_load_b64 v[49:50], v[65:66], off offset:15488
	global_load_b64 v[51:52], v97, s[2:3] offset:13376
	global_load_b64 v[58:59], v97, s[2:3] offset:1408
	;; [unrolled: 1-line block ×9, first 2 shown]
	ds_load_2addr_b64 v[44:47], v97 offset1:176
	ds_load_b64 v[53:54], v97 offset:13376
	ds_load_b64 v[130:131], v97 offset:5632
	s_wait_loadcnt_dscnt 0x701
	v_dual_mul_f32 v133, v53, v52 :: v_dual_mul_f32 v60, v46, v59
	s_wait_loadcnt_dscnt 0x600
	v_mul_f32_e32 v135, v130, v117
	s_delay_alu instid0(VALU_DEP_2) | instskip(SKIP_4) | instid1(VALU_DEP_4)
	v_dual_fmac_f32 v133, v54, v51 :: v_dual_fmac_f32 v60, v47, v58
	v_mul_f32_e32 v55, v45, v50
	v_mul_f32_e32 v56, v44, v50
	;; [unrolled: 1-line block ×3, first 2 shown]
	v_dual_fmac_f32 v135, v131, v116 :: v_dual_add_nc_u32 v136, 0x400, v97
	v_fma_f32 v55, v44, v49, -v55
	s_delay_alu instid0(VALU_DEP_4)
	v_fmac_f32_e32 v56, v45, v49
	v_dual_mul_f32 v45, v47, v59 :: v_dual_add_nc_u32 v44, 0x1c00, v97
	v_fma_f32 v132, v53, v51, -v50
	v_add_nc_u32_e32 v53, 0x2800, v97
	ds_store_b64 v97, v[55:56]
	ds_load_2addr_b64 v[49:52], v44 offset0:72 offset1:248
	ds_load_2addr_b64 v[54:57], v48 offset0:32 offset1:208
	;; [unrolled: 1-line block ×3, first 2 shown]
	v_mul_f32_e32 v134, v131, v117
	v_add_nc_u32_e32 v137, 0x1000, v97
	v_fma_f32 v59, v46, v58, -v45
	s_wait_loadcnt_dscnt 0x502
	v_mul_f32_e32 v46, v49, v119
	v_mul_f32_e32 v45, v50, v119
	s_wait_loadcnt_dscnt 0x301
	v_dual_mul_f32 v47, v52, v121 :: v_dual_mul_f32 v58, v55, v123
	s_delay_alu instid0(VALU_DEP_3)
	v_dual_mul_f32 v117, v51, v121 :: v_dual_fmac_f32 v46, v50, v118
	v_mul_f32_e32 v119, v54, v123
	v_fma_f32 v134, v130, v116, -v134
	s_wait_loadcnt_dscnt 0x100
	v_dual_mul_f32 v130, v94, v125 :: v_dual_mul_f32 v131, v57, v127
	v_mul_f32_e32 v121, v93, v125
	v_mul_f32_e32 v123, v56, v127
	s_wait_loadcnt 0x0
	v_mul_f32_e32 v127, v96, v129
	v_mul_f32_e32 v125, v95, v129
	v_fma_f32 v45, v49, v118, -v45
	v_fma_f32 v116, v51, v120, -v47
	v_fmac_f32_e32 v117, v52, v120
	v_fma_f32 v118, v54, v122, -v58
	v_fmac_f32_e32 v119, v55, v122
	v_fma_f32 v120, v93, v124, -v130
	v_fmac_f32_e32 v121, v94, v124
	v_fma_f32 v124, v95, v128, -v127
	v_fmac_f32_e32 v125, v96, v128
	v_fma_f32 v122, v56, v126, -v131
	v_fmac_f32_e32 v123, v57, v126
	ds_store_2addr_b64 v44, v[45:46], v[116:117] offset0:72 offset1:248
	ds_store_2addr_b64 v136, v[59:60], v[118:119] offset0:48 offset1:224
	;; [unrolled: 1-line block ×4, first 2 shown]
	ds_store_b64 v97, v[132:133] offset:13376
	s_and_saveexec_b32 s1, vcc_lo
	s_cbranch_execz .LBB0_17
; %bb.16:
	s_wait_alu 0xfffe
	v_add_co_u32 v45, s2, s2, v97
	s_wait_alu 0xf1ff
	v_add_co_ci_u32_e64 v46, null, s3, 0, s2
	s_clause 0x1
	global_load_b64 v[49:50], v[45:46], off offset:7040
	global_load_b64 v[45:46], v[45:46], off offset:14784
	ds_load_b64 v[51:52], v97 offset:7040
	ds_load_b64 v[54:55], v97 offset:14784
	s_wait_loadcnt_dscnt 0x101
	v_mul_f32_e32 v56, v52, v50
	v_mul_f32_e32 v47, v51, v50
	s_wait_loadcnt_dscnt 0x0
	v_mul_f32_e32 v57, v55, v46
	v_mul_f32_e32 v50, v54, v46
	v_fma_f32 v46, v51, v49, -v56
	v_fmac_f32_e32 v47, v52, v49
	s_delay_alu instid0(VALU_DEP_4) | instskip(NEXT) | instid1(VALU_DEP_4)
	v_fma_f32 v49, v54, v45, -v57
	v_fmac_f32_e32 v50, v55, v45
	ds_store_b64 v97, v[46:47] offset:7040
	ds_store_b64 v97, v[49:50] offset:14784
.LBB0_17:
	s_wait_alu 0xfffe
	s_or_b32 exec_lo, exec_lo, s1
	global_wb scope:SCOPE_SE
	s_wait_dscnt 0x0
	s_barrier_signal -1
	s_barrier_wait -1
	global_inv scope:SCOPE_SE
	ds_load_2addr_b64 v[49:52], v97 offset1:176
	ds_load_2addr_b64 v[57:60], v44 offset0:72 offset1:248
	ds_load_2addr_b64 v[45:48], v48 offset0:32 offset1:208
	;; [unrolled: 1-line block ×3, first 2 shown]
	ds_load_b64 v[93:94], v97 offset:5632
	ds_load_b64 v[95:96], v97 offset:13376
	v_lshlrev_b32_e32 v116, 3, v112
	v_lshlrev_b32_e32 v112, 3, v113
	s_and_saveexec_b32 s1, vcc_lo
	s_cbranch_execz .LBB0_19
; %bb.18:
	ds_load_b64 v[91:92], v97 offset:7040
	ds_load_b64 v[61:62], v97 offset:14784
.LBB0_19:
	s_wait_alu 0xfffe
	s_or_b32 exec_lo, exec_lo, s1
	s_wait_dscnt 0x4
	v_dual_sub_f32 v59, v51, v59 :: v_dual_sub_f32 v60, v52, v60
	s_wait_dscnt 0x2
	v_dual_sub_f32 v53, v45, v53 :: v_dual_sub_f32 v54, v46, v54
	v_dual_sub_f32 v123, v47, v55 :: v_dual_sub_f32 v124, v48, v56
	;; [unrolled: 1-line block ×3, first 2 shown]
	v_fma_f32 v58, v52, 2.0, -v60
	s_delay_alu instid0(VALU_DEP_4) | instskip(NEXT) | instid1(VALU_DEP_4)
	v_fma_f32 v52, v46, 2.0, -v54
	v_fma_f32 v121, v47, 2.0, -v123
	s_wait_dscnt 0x0
	v_dual_sub_f32 v46, v91, v61 :: v_dual_sub_f32 v47, v92, v62
	v_dual_sub_f32 v95, v93, v95 :: v_dual_sub_f32 v96, v94, v96
	v_fma_f32 v117, v49, 2.0, -v119
	v_fma_f32 v118, v50, 2.0, -v120
	;; [unrolled: 1-line block ×9, first 2 shown]
	global_wb scope:SCOPE_SE
	s_barrier_signal -1
	s_barrier_wait -1
	global_inv scope:SCOPE_SE
	ds_store_b128 v63, v[117:120]
	ds_store_b128 v101, v[57:60]
	;; [unrolled: 1-line block ×5, first 2 shown]
	s_and_saveexec_b32 s1, vcc_lo
	s_cbranch_execz .LBB0_21
; %bb.20:
	ds_store_b128 v102, v[44:47]
.LBB0_21:
	s_wait_alu 0xfffe
	s_or_b32 exec_lo, exec_lo, s1
	v_add_nc_u32_e32 v48, 0x1c00, v97
	v_add_nc_u32_e32 v49, 0xa00, v97
	;; [unrolled: 1-line block ×3, first 2 shown]
	global_wb scope:SCOPE_SE
	s_wait_dscnt 0x0
	s_barrier_signal -1
	s_barrier_wait -1
	global_inv scope:SCOPE_SE
	ds_load_2addr_b64 v[52:55], v97 offset1:176
	ds_load_2addr_b64 v[60:63], v48 offset0:72 offset1:248
	ds_load_2addr_b64 v[48:51], v49 offset0:32 offset1:208
	;; [unrolled: 1-line block ×3, first 2 shown]
	ds_load_b64 v[91:92], v97 offset:5632
	ds_load_b64 v[93:94], v97 offset:13376
	s_and_saveexec_b32 s1, vcc_lo
	s_cbranch_execz .LBB0_23
; %bb.22:
	ds_load_b64 v[44:45], v97 offset:7040
	ds_load_b64 v[46:47], v97 offset:14784
.LBB0_23:
	s_wait_alu 0xfffe
	s_or_b32 exec_lo, exec_lo, s1
	s_wait_dscnt 0x0
	v_mul_f32_e32 v112, v90, v47
	v_mul_f32_e32 v95, v90, v61
	;; [unrolled: 1-line block ×5, first 2 shown]
	v_fmac_f32_e32 v112, v89, v46
	s_delay_alu instid0(VALU_DEP_4) | instskip(SKIP_3) | instid1(VALU_DEP_4)
	v_dual_mul_f32 v96, v90, v60 :: v_dual_fmac_f32 v101, v89, v62
	v_fmac_f32_e32 v95, v89, v60
	v_fma_f32 v62, v89, v63, -v102
	v_dual_mul_f32 v102, v90, v58 :: v_dual_fmac_f32 v103, v89, v93
	v_fma_f32 v60, v89, v61, -v96
	v_mul_f32_e32 v61, v90, v57
	v_mul_f32_e32 v96, v90, v59
	s_delay_alu instid0(VALU_DEP_4)
	v_fma_f32 v102, v89, v59, -v102
	global_wb scope:SCOPE_SE
	s_barrier_signal -1
	v_fmac_f32_e32 v61, v89, v56
	v_dual_mul_f32 v63, v90, v56 :: v_dual_fmac_f32 v96, v89, v58
	v_sub_f32_e32 v56, v52, v95
	s_barrier_wait -1
	global_inv scope:SCOPE_SE
	v_fma_f32 v63, v89, v57, -v63
	v_mul_f32_e32 v57, v90, v93
	v_mul_f32_e32 v58, v90, v46
	v_fma_f32 v46, v52, 2.0, -v56
	s_delay_alu instid0(VALU_DEP_4) | instskip(NEXT) | instid1(VALU_DEP_4)
	v_dual_sub_f32 v52, v54, v101 :: v_dual_sub_f32 v59, v49, v63
	v_fma_f32 v90, v89, v94, -v57
	v_sub_f32_e32 v57, v53, v60
	v_fma_f32 v60, v89, v47, -v58
	v_sub_f32_e32 v93, v50, v96
	v_sub_f32_e32 v89, v44, v112
	;; [unrolled: 1-line block ×3, first 2 shown]
	v_fma_f32 v47, v53, 2.0, -v57
	v_sub_f32_e32 v53, v55, v62
	v_sub_f32_e32 v62, v91, v103
	;; [unrolled: 1-line block ×5, first 2 shown]
	v_fma_f32 v61, v92, 2.0, -v63
	v_fma_f32 v60, v91, 2.0, -v62
	;; [unrolled: 1-line block ×10, first 2 shown]
	ds_store_2addr_b64 v110, v[46:47], v[56:57] offset1:2
	ds_store_2addr_b64 v109, v[54:55], v[52:53] offset1:2
	;; [unrolled: 1-line block ×5, first 2 shown]
	s_and_saveexec_b32 s1, vcc_lo
	s_cbranch_execz .LBB0_25
; %bb.24:
	v_and_or_b32 v44, 0x7fc, v104, v99
	s_delay_alu instid0(VALU_DEP_1)
	v_lshlrev_b32_e32 v44, 3, v44
	ds_store_2addr_b64 v44, v[91:92], v[89:90] offset1:2
.LBB0_25:
	s_wait_alu 0xfffe
	s_or_b32 exec_lo, exec_lo, s1
	v_add_nc_u32_e32 v48, 0xe00, v97
	v_add_nc_u32_e32 v49, 0x1c00, v97
	;; [unrolled: 1-line block ×3, first 2 shown]
	global_wb scope:SCOPE_SE
	s_wait_dscnt 0x0
	s_barrier_signal -1
	s_barrier_wait -1
	global_inv scope:SCOPE_SE
	ds_load_2addr_b64 v[44:47], v97 offset1:176
	ds_load_2addr_b64 v[56:59], v48 offset0:36 offset1:212
	ds_load_2addr_b64 v[52:55], v49 offset0:72 offset1:248
	;; [unrolled: 1-line block ×3, first 2 shown]
	s_and_saveexec_b32 s1, s0
	s_cbranch_execz .LBB0_27
; %bb.26:
	ds_load_b64 v[60:61], v97 offset:2816
	ds_load_b64 v[62:63], v97 offset:6688
	;; [unrolled: 1-line block ×4, first 2 shown]
.LBB0_27:
	s_wait_alu 0xfffe
	s_or_b32 exec_lo, exec_lo, s1
	s_wait_dscnt 0x1
	v_dual_mul_f32 v93, v1, v57 :: v_dual_mul_f32 v96, v3, v52
	v_dual_mul_f32 v94, v1, v56 :: v_dual_mul_f32 v95, v3, v53
	global_wb scope:SCOPE_SE
	s_wait_dscnt 0x0
	v_fmac_f32_e32 v93, v0, v56
	v_fma_f32 v53, v2, v53, -v96
	v_fma_f32 v56, v0, v57, -v94
	v_dual_mul_f32 v94, v1, v59 :: v_dual_fmac_f32 v95, v2, v52
	v_mul_f32_e32 v52, v88, v49
	v_dual_mul_f32 v57, v88, v48 :: v_dual_mul_f32 v96, v1, v58
	s_delay_alu instid0(VALU_DEP_3) | instskip(NEXT) | instid1(VALU_DEP_3)
	v_dual_mul_f32 v99, v3, v55 :: v_dual_fmac_f32 v94, v0, v58
	v_fmac_f32_e32 v52, v87, v48
	s_delay_alu instid0(VALU_DEP_3) | instskip(SKIP_2) | instid1(VALU_DEP_4)
	v_fma_f32 v48, v87, v49, -v57
	v_sub_f32_e32 v57, v44, v95
	v_fma_f32 v49, v0, v59, -v96
	v_dual_fmac_f32 v99, v2, v54 :: v_dual_sub_f32 v52, v93, v52
	s_delay_alu instid0(VALU_DEP_4) | instskip(SKIP_2) | instid1(VALU_DEP_4)
	v_dual_mul_f32 v54, v3, v54 :: v_dual_sub_f32 v59, v56, v48
	v_sub_f32_e32 v58, v45, v53
	v_fma_f32 v53, v44, 2.0, -v57
	v_fma_f32 v44, v93, 2.0, -v52
	v_mul_f32_e32 v93, v88, v51
	v_fma_f32 v54, v2, v55, -v54
	v_fma_f32 v95, v45, 2.0, -v58
	v_fma_f32 v45, v56, 2.0, -v59
	v_mul_f32_e32 v48, v88, v50
	v_dual_sub_f32 v44, v53, v44 :: v_dual_fmac_f32 v93, v87, v50
	v_dual_sub_f32 v96, v46, v99 :: v_dual_sub_f32 v99, v47, v54
	s_delay_alu instid0(VALU_DEP_4) | instskip(NEXT) | instid1(VALU_DEP_4)
	v_sub_f32_e32 v45, v95, v45
	v_fma_f32 v50, v87, v51, -v48
	s_delay_alu instid0(VALU_DEP_4) | instskip(SKIP_2) | instid1(VALU_DEP_4)
	v_sub_f32_e32 v55, v94, v93
	v_fma_f32 v48, v53, 2.0, -v44
	v_fma_f32 v56, v46, 2.0, -v96
	v_dual_sub_f32 v51, v58, v52 :: v_dual_sub_f32 v54, v49, v50
	v_add_f32_e32 v50, v57, v59
	v_fma_f32 v59, v47, 2.0, -v99
	v_fma_f32 v47, v94, 2.0, -v55
	v_sub_f32_e32 v55, v99, v55
	v_fma_f32 v53, v49, 2.0, -v54
	v_add_f32_e32 v54, v96, v54
	v_fma_f32 v49, v95, 2.0, -v45
	v_sub_f32_e32 v52, v56, v47
	v_fma_f32 v46, v57, 2.0, -v50
	v_sub_f32_e32 v53, v59, v53
	v_fma_f32 v47, v58, 2.0, -v51
	v_fma_f32 v58, v96, 2.0, -v54
	;; [unrolled: 1-line block ×3, first 2 shown]
	s_barrier_signal -1
	v_fma_f32 v57, v59, 2.0, -v53
	v_fma_f32 v59, v99, 2.0, -v55
	s_barrier_wait -1
	global_inv scope:SCOPE_SE
	ds_store_2addr_b64 v114, v[48:49], v[46:47] offset1:4
	ds_store_2addr_b64 v114, v[44:45], v[50:51] offset0:8 offset1:12
	ds_store_2addr_b64 v111, v[56:57], v[58:59] offset1:4
	ds_store_2addr_b64 v111, v[52:53], v[54:55] offset0:8 offset1:12
	s_and_saveexec_b32 s1, s0
	s_cbranch_execz .LBB0_29
; %bb.28:
	v_mul_f32_e32 v44, v3, v91
	v_dual_mul_f32 v45, v1, v63 :: v_dual_mul_f32 v46, v88, v89
	v_mul_f32_e32 v1, v1, v62
	v_and_or_b32 v49, 0xff0, v108, v100
	s_delay_alu instid0(VALU_DEP_4)
	v_fma_f32 v44, v2, v92, -v44
	v_mul_f32_e32 v47, v88, v90
	v_fmac_f32_e32 v45, v0, v62
	v_fma_f32 v0, v0, v63, -v1
	v_fma_f32 v1, v87, v90, -v46
	v_sub_f32_e32 v44, v61, v44
	v_mul_f32_e32 v3, v3, v92
	v_lshlrev_b32_e32 v49, 3, v49
	s_delay_alu instid0(VALU_DEP_2) | instskip(SKIP_2) | instid1(VALU_DEP_3)
	v_fmac_f32_e32 v3, v2, v91
	v_fmac_f32_e32 v47, v87, v89
	v_sub_f32_e32 v2, v0, v1
	v_sub_f32_e32 v46, v60, v3
	s_delay_alu instid0(VALU_DEP_3) | instskip(SKIP_1) | instid1(VALU_DEP_4)
	v_sub_f32_e32 v1, v45, v47
	v_fma_f32 v47, v61, 2.0, -v44
	v_fma_f32 v3, v0, 2.0, -v2
	s_delay_alu instid0(VALU_DEP_4) | instskip(SKIP_3) | instid1(VALU_DEP_2)
	v_add_f32_e32 v0, v46, v2
	v_fma_f32 v48, v60, 2.0, -v46
	v_fma_f32 v45, v45, 2.0, -v1
	v_sub_f32_e32 v1, v44, v1
	v_dual_sub_f32 v3, v47, v3 :: v_dual_sub_f32 v2, v48, v45
	s_delay_alu instid0(VALU_DEP_2) | instskip(SKIP_1) | instid1(VALU_DEP_3)
	v_fma_f32 v45, v44, 2.0, -v1
	v_fma_f32 v44, v46, 2.0, -v0
	;; [unrolled: 1-line block ×3, first 2 shown]
	s_delay_alu instid0(VALU_DEP_4)
	v_fma_f32 v46, v48, 2.0, -v2
	ds_store_2addr_b64 v49, v[46:47], v[44:45] offset1:4
	ds_store_2addr_b64 v49, v[2:3], v[0:1] offset0:8 offset1:12
.LBB0_29:
	s_wait_alu 0xfffe
	s_or_b32 exec_lo, exec_lo, s1
	global_wb scope:SCOPE_SE
	s_wait_dscnt 0x0
	s_barrier_signal -1
	s_barrier_wait -1
	global_inv scope:SCOPE_SE
	ds_load_2addr_b64 v[44:47], v97 offset1:176
	v_add_nc_u32_e32 v0, 0xa00, v97
	v_add_nc_u32_e32 v2, 0x1400, v97
	s_mov_b32 s2, 0x6be69c90
	s_mov_b32 s3, 0x3f40ecf5
	s_wait_dscnt 0x0
	v_mul_f32_e32 v89, v21, v47
	v_mul_f32_e32 v21, v21, v46
	ds_load_2addr_b64 v[48:51], v0 offset0:32 offset1:208
	ds_load_2addr_b64 v[52:55], v2 offset0:64 offset1:240
	v_add_nc_u32_e32 v3, 0x2000, v97
	v_add_nc_u32_e32 v1, 0x2c00, v97
	v_fmac_f32_e32 v89, v20, v46
	v_fma_f32 v20, v20, v47, -v21
	s_wait_dscnt 0x1
	v_mul_f32_e32 v46, v17, v51
	ds_load_2addr_b64 v[56:59], v3 offset0:32 offset1:208
	s_wait_dscnt 0x1
	v_mul_f32_e32 v90, v9, v55
	ds_load_b64 v[87:88], v97 offset:14080
	ds_load_2addr_b64 v[60:63], v1 offset1:176
	v_dual_mul_f32 v21, v23, v49 :: v_dual_fmac_f32 v46, v16, v50
	v_mul_f32_e32 v47, v19, v53
	v_dual_mul_f32 v23, v23, v48 :: v_dual_fmac_f32 v90, v8, v54
	v_mul_f32_e32 v17, v17, v50
	s_delay_alu instid0(VALU_DEP_4) | instskip(NEXT) | instid1(VALU_DEP_4)
	v_fmac_f32_e32 v21, v22, v48
	v_fmac_f32_e32 v47, v18, v52
	s_delay_alu instid0(VALU_DEP_4)
	v_fma_f32 v22, v22, v49, -v23
	v_add_f32_e32 v23, v45, v20
	v_fma_f32 v16, v16, v51, -v17
	global_wb scope:SCOPE_SE
	s_wait_dscnt 0x0
	s_barrier_signal -1
	s_barrier_wait -1
	global_inv scope:SCOPE_SE
	v_mul_f32_e32 v48, v7, v61
	v_mul_f32_e32 v19, v19, v52
	s_delay_alu instid0(VALU_DEP_2) | instskip(NEXT) | instid1(VALU_DEP_2)
	v_dual_mul_f32 v9, v9, v54 :: v_dual_fmac_f32 v48, v6, v60
	v_fma_f32 v17, v18, v53, -v19
	v_mul_f32_e32 v18, v11, v57
	v_add_f32_e32 v19, v44, v89
	s_delay_alu instid0(VALU_DEP_4) | instskip(SKIP_1) | instid1(VALU_DEP_3)
	v_fma_f32 v8, v8, v55, -v9
	v_mul_f32_e32 v9, v11, v56
	v_dual_fmac_f32 v18, v10, v56 :: v_dual_add_f32 v11, v19, v21
	v_add_f32_e32 v19, v23, v22
	v_mul_f32_e32 v23, v5, v59
	v_mul_f32_e32 v5, v5, v58
	v_fma_f32 v9, v10, v57, -v9
	v_add_f32_e32 v10, v11, v46
	v_add_f32_e32 v11, v19, v16
	v_fmac_f32_e32 v23, v4, v58
	v_fma_f32 v19, v4, v59, -v5
	s_delay_alu instid0(VALU_DEP_4) | instskip(SKIP_1) | instid1(VALU_DEP_2)
	v_add_f32_e32 v4, v10, v47
	v_mul_f32_e32 v10, v13, v63
	v_add_f32_e32 v4, v4, v90
	s_delay_alu instid0(VALU_DEP_2) | instskip(NEXT) | instid1(VALU_DEP_2)
	v_fmac_f32_e32 v10, v12, v62
	v_add_f32_e32 v4, v4, v18
	s_delay_alu instid0(VALU_DEP_1) | instskip(NEXT) | instid1(VALU_DEP_1)
	v_add_f32_e32 v4, v4, v23
	v_add_f32_e32 v4, v4, v48
	s_delay_alu instid0(VALU_DEP_1) | instskip(SKIP_1) | instid1(VALU_DEP_1)
	v_dual_add_f32 v4, v4, v10 :: v_dual_add_f32 v5, v11, v17
	v_mul_f32_e32 v11, v15, v88
	v_fmac_f32_e32 v11, v14, v87
	s_delay_alu instid0(VALU_DEP_1) | instskip(SKIP_1) | instid1(VALU_DEP_1)
	v_sub_f32_e32 v49, v89, v11
	v_mul_f32_e32 v7, v7, v60
	v_fma_f32 v6, v6, v61, -v7
	v_mul_f32_e32 v7, v15, v87
	s_delay_alu instid0(VALU_DEP_1) | instskip(NEXT) | instid1(VALU_DEP_1)
	v_fma_f32 v7, v14, v88, -v7
	v_add_f32_e32 v15, v20, v7
	s_delay_alu instid0(VALU_DEP_1) | instskip(NEXT) | instid1(VALU_DEP_1)
	v_dual_mul_f32 v13, v13, v62 :: v_dual_mul_f32 v56, 0xbe11bafb, v15
	v_fma_f32 v12, v12, v63, -v13
	s_delay_alu instid0(VALU_DEP_2) | instskip(SKIP_3) | instid1(VALU_DEP_4)
	v_dual_sub_f32 v13, v20, v7 :: v_dual_fmamk_f32 v58, v49, 0x3f7d64f0, v56
	v_fmac_f32_e32 v56, 0xbf7d64f0, v49
	v_add_f32_e32 v14, v89, v11
	v_dual_add_f32 v4, v4, v11 :: v_dual_add_f32 v5, v5, v8
	v_mul_f32_e32 v20, 0xbf0a6770, v13
	v_mul_f32_e32 v54, 0xbf7d64f0, v13
	v_add_f32_e32 v58, v45, v58
	s_delay_alu instid0(VALU_DEP_4) | instskip(NEXT) | instid1(VALU_DEP_4)
	v_dual_mul_f32 v60, 0xbf27a4f4, v15 :: v_dual_add_f32 v5, v5, v9
	v_dual_fmamk_f32 v51, v14, 0x3f575c64, v20 :: v_dual_add_f32 v56, v45, v56
	s_delay_alu instid0(VALU_DEP_4) | instskip(SKIP_1) | instid1(VALU_DEP_4)
	v_fmamk_f32 v57, v14, 0xbe11bafb, v54
	v_fma_f32 v54, 0xbe11bafb, v14, -v54
	v_add_f32_e32 v5, v5, v19
	v_sub_f32_e32 v87, v22, v12
	v_mul_f32_e32 v59, 0xbf4178ce, v13
	v_mul_f32_e32 v50, 0x3f575c64, v15
	v_add_f32_e32 v54, v44, v54
	v_add_f32_e32 v5, v5, v6
	v_fma_f32 v20, 0x3f575c64, v14, -v20
	s_delay_alu instid0(VALU_DEP_2) | instskip(SKIP_2) | instid1(VALU_DEP_3)
	v_add_f32_e32 v5, v5, v12
	v_dual_add_f32 v12, v22, v12 :: v_dual_add_f32 v51, v44, v51
	v_fmamk_f32 v62, v49, 0x3f4178ce, v60
	v_dual_fmac_f32 v60, 0xbf4178ce, v49 :: v_dual_add_f32 v5, v5, v7
	v_mul_f32_e32 v7, 0xbf68dda4, v13
	v_mul_f32_e32 v53, 0x3ed4b147, v15
	s_delay_alu instid0(VALU_DEP_4) | instskip(SKIP_1) | instid1(VALU_DEP_4)
	v_dual_mul_f32 v13, 0xbe903f40, v13 :: v_dual_add_f32 v62, v45, v62
	v_fmamk_f32 v61, v14, 0xbf27a4f4, v59
	v_fmamk_f32 v52, v14, 0x3ed4b147, v7
	v_fma_f32 v7, 0x3ed4b147, v14, -v7
	v_fma_f32 v59, 0xbf27a4f4, v14, -v59
	v_dual_fmamk_f32 v63, v14, 0xbf75a155, v13 :: v_dual_add_f32 v60, v45, v60
	s_delay_alu instid0(VALU_DEP_4) | instskip(SKIP_4) | instid1(VALU_DEP_4)
	v_dual_add_f32 v52, v44, v52 :: v_dual_fmamk_f32 v55, v49, 0x3f68dda4, v53
	v_fmac_f32_e32 v53, 0xbf68dda4, v49
	v_fma_f32 v13, 0xbf75a155, v14, -v13
	v_dual_add_f32 v14, v21, v10 :: v_dual_mul_f32 v15, 0xbf75a155, v15
	v_add_f32_e32 v7, v44, v7
	v_dual_add_f32 v53, v45, v53 :: v_dual_mul_f32 v22, 0xbf68dda4, v87
	v_add_f32_e32 v20, v44, v20
	s_delay_alu instid0(VALU_DEP_4) | instskip(SKIP_3) | instid1(VALU_DEP_4)
	v_fmamk_f32 v88, v49, 0x3e903f40, v15
	v_fmamk_f32 v11, v49, 0x3f0a6770, v50
	v_dual_fmac_f32 v50, 0xbf0a6770, v49 :: v_dual_add_f32 v55, v45, v55
	v_dual_fmac_f32 v15, 0xbe903f40, v49 :: v_dual_sub_f32 v10, v21, v10
	v_dual_add_f32 v49, v45, v88 :: v_dual_fmamk_f32 v88, v14, 0x3ed4b147, v22
	v_fma_f32 v22, 0x3ed4b147, v14, -v22
	s_delay_alu instid0(VALU_DEP_4) | instskip(SKIP_1) | instid1(VALU_DEP_4)
	v_dual_add_f32 v50, v45, v50 :: v_dual_add_f32 v63, v44, v63
	v_add_f32_e32 v13, v44, v13
	v_dual_add_f32 v51, v88, v51 :: v_dual_mul_f32 v88, 0xbf27a4f4, v12
	s_delay_alu instid0(VALU_DEP_4)
	v_dual_add_f32 v61, v44, v61 :: v_dual_add_f32 v20, v22, v20
	v_mul_f32_e32 v22, 0x3e903f40, v87
	v_mul_f32_e32 v21, 0x3ed4b147, v12
	v_add_f32_e32 v11, v45, v11
	v_add_f32_e32 v59, v44, v59
	;; [unrolled: 1-line block ×3, first 2 shown]
	v_mul_f32_e32 v45, 0xbf4178ce, v87
	v_dual_add_f32 v57, v44, v57 :: v_dual_fmamk_f32 v44, v10, 0x3f68dda4, v21
	v_fmac_f32_e32 v21, 0xbf68dda4, v10
	v_mul_f32_e32 v89, 0xbf75a155, v12
	s_delay_alu instid0(VALU_DEP_3) | instskip(NEXT) | instid1(VALU_DEP_1)
	v_dual_add_f32 v11, v44, v11 :: v_dual_fmamk_f32 v44, v14, 0xbf27a4f4, v45
	v_add_f32_e32 v44, v44, v52
	v_fmamk_f32 v52, v14, 0xbf75a155, v22
	v_fma_f32 v22, 0xbf75a155, v14, -v22
	s_delay_alu instid0(VALU_DEP_2) | instskip(NEXT) | instid1(VALU_DEP_2)
	v_dual_add_f32 v52, v52, v57 :: v_dual_mul_f32 v57, 0xbe11bafb, v12
	v_add_f32_e32 v22, v22, v54
	v_mul_f32_e32 v12, 0x3f575c64, v12
	s_delay_alu instid0(VALU_DEP_3) | instskip(NEXT) | instid1(VALU_DEP_1)
	v_fmamk_f32 v54, v10, 0xbf7d64f0, v57
	v_add_f32_e32 v54, v54, v62
	v_dual_add_f32 v62, v46, v48 :: v_dual_add_f32 v21, v21, v50
	v_fmamk_f32 v50, v10, 0x3f4178ce, v88
	v_fma_f32 v45, 0xbf27a4f4, v14, -v45
	v_fmac_f32_e32 v88, 0xbf4178ce, v10
	s_delay_alu instid0(VALU_DEP_3) | instskip(NEXT) | instid1(VALU_DEP_3)
	v_add_f32_e32 v50, v50, v55
	v_add_f32_e32 v7, v45, v7
	s_delay_alu instid0(VALU_DEP_3) | instskip(SKIP_4) | instid1(VALU_DEP_3)
	v_add_f32_e32 v45, v88, v53
	v_fmamk_f32 v53, v10, 0xbe903f40, v89
	v_mul_f32_e32 v55, 0x3f7d64f0, v87
	v_mul_f32_e32 v87, 0x3f0a6770, v87
	v_fmac_f32_e32 v57, 0x3f7d64f0, v10
	v_dual_add_f32 v53, v53, v58 :: v_dual_fmamk_f32 v58, v14, 0xbe11bafb, v55
	v_fma_f32 v55, 0xbe11bafb, v14, -v55
	s_delay_alu instid0(VALU_DEP_2) | instskip(SKIP_1) | instid1(VALU_DEP_3)
	v_add_f32_e32 v58, v58, v61
	v_fmamk_f32 v61, v14, 0x3f575c64, v87
	v_add_f32_e32 v55, v55, v59
	v_sub_f32_e32 v59, v16, v6
	v_dual_add_f32 v6, v16, v6 :: v_dual_add_f32 v57, v57, v60
	s_delay_alu instid0(VALU_DEP_4) | instskip(NEXT) | instid1(VALU_DEP_3)
	v_dual_add_f32 v60, v61, v63 :: v_dual_fmamk_f32 v61, v10, 0xbf0a6770, v12
	v_mul_f32_e32 v63, 0xbf7d64f0, v59
	v_fma_f32 v14, 0x3f575c64, v14, -v87
	v_fmac_f32_e32 v12, 0x3f0a6770, v10
	s_delay_alu instid0(VALU_DEP_3) | instskip(SKIP_4) | instid1(VALU_DEP_4)
	v_fmamk_f32 v16, v62, 0xbe11bafb, v63
	v_dual_fmac_f32 v89, 0x3e903f40, v10 :: v_dual_sub_f32 v10, v46, v48
	v_mul_f32_e32 v46, 0xbe11bafb, v6
	v_add_f32_e32 v48, v61, v49
	v_add_f32_e32 v12, v12, v15
	v_dual_add_f32 v56, v89, v56 :: v_dual_add_f32 v13, v14, v13
	s_delay_alu instid0(VALU_DEP_4)
	v_dual_add_f32 v14, v16, v51 :: v_dual_fmamk_f32 v15, v10, 0x3f7d64f0, v46
	v_mul_f32_e32 v16, 0x3e903f40, v59
	v_fma_f32 v49, 0xbe11bafb, v62, -v63
	v_fmac_f32_e32 v46, 0xbf7d64f0, v10
	v_mul_f32_e32 v51, 0xbf75a155, v6
	v_add_f32_e32 v11, v15, v11
	s_delay_alu instid0(VALU_DEP_4) | instskip(NEXT) | instid1(VALU_DEP_4)
	v_dual_fmamk_f32 v15, v62, 0xbf75a155, v16 :: v_dual_add_f32 v20, v49, v20
	v_add_f32_e32 v21, v46, v21
	s_delay_alu instid0(VALU_DEP_4)
	v_fmamk_f32 v46, v10, 0xbe903f40, v51
	v_mul_f32_e32 v49, 0x3f68dda4, v59
	v_fma_f32 v16, 0xbf75a155, v62, -v16
	v_fmac_f32_e32 v51, 0x3e903f40, v10
	v_mul_f32_e32 v61, 0x3f575c64, v6
	v_dual_add_f32 v15, v15, v44 :: v_dual_add_f32 v44, v46, v50
	v_fmamk_f32 v46, v62, 0x3ed4b147, v49
	v_dual_mul_f32 v50, 0x3ed4b147, v6 :: v_dual_add_f32 v7, v16, v7
	v_dual_add_f32 v16, v51, v45 :: v_dual_mul_f32 v45, 0xbf0a6770, v59
	s_delay_alu instid0(VALU_DEP_3) | instskip(NEXT) | instid1(VALU_DEP_3)
	v_add_f32_e32 v46, v46, v52
	v_fmamk_f32 v51, v10, 0xbf68dda4, v50
	v_fma_f32 v49, 0x3ed4b147, v62, -v49
	v_fmac_f32_e32 v50, 0x3f68dda4, v10
	v_fmamk_f32 v52, v62, 0x3f575c64, v45
	v_mul_f32_e32 v6, 0xbf27a4f4, v6
	v_fma_f32 v45, 0x3f575c64, v62, -v45
	s_delay_alu instid0(VALU_DEP_4) | instskip(NEXT) | instid1(VALU_DEP_4)
	v_dual_add_f32 v22, v49, v22 :: v_dual_add_f32 v49, v50, v56
	v_add_f32_e32 v50, v52, v58
	v_fmamk_f32 v52, v10, 0x3f0a6770, v61
	v_fmac_f32_e32 v61, 0xbf0a6770, v10
	v_dual_fmamk_f32 v56, v10, 0x3f4178ce, v6 :: v_dual_add_f32 v45, v45, v55
	v_fmac_f32_e32 v6, 0xbf4178ce, v10
	s_delay_alu instid0(VALU_DEP_3) | instskip(NEXT) | instid1(VALU_DEP_3)
	v_dual_sub_f32 v10, v47, v23 :: v_dual_add_f32 v55, v61, v57
	v_dual_sub_f32 v57, v17, v19 :: v_dual_add_f32 v48, v56, v48
	v_add_f32_e32 v56, v47, v23
	v_add_f32_e32 v51, v51, v53
	v_mul_f32_e32 v53, 0xbf4178ce, v59
	v_add_f32_e32 v17, v17, v19
	v_dual_mul_f32 v19, 0xbf4178ce, v57 :: v_dual_add_f32 v52, v52, v54
	v_add_f32_e32 v6, v6, v12
	s_delay_alu instid0(VALU_DEP_4) | instskip(SKIP_1) | instid1(VALU_DEP_4)
	v_fmamk_f32 v54, v62, 0xbf27a4f4, v53
	v_fma_f32 v53, 0xbf27a4f4, v62, -v53
	v_fmamk_f32 v47, v56, 0xbf27a4f4, v19
	v_mul_f32_e32 v12, 0x3f7d64f0, v57
	v_mul_f32_e32 v23, 0xbf27a4f4, v17
	v_fma_f32 v19, 0xbf27a4f4, v56, -v19
	v_dual_add_f32 v54, v54, v60 :: v_dual_add_f32 v13, v53, v13
	s_delay_alu instid0(VALU_DEP_3) | instskip(SKIP_1) | instid1(VALU_DEP_4)
	v_dual_add_f32 v14, v47, v14 :: v_dual_fmamk_f32 v53, v10, 0x3f4178ce, v23
	v_fmamk_f32 v47, v56, 0xbe11bafb, v12
	v_add_f32_e32 v19, v19, v20
	v_fmac_f32_e32 v23, 0xbf4178ce, v10
	v_fma_f32 v12, 0xbe11bafb, v56, -v12
	s_delay_alu instid0(VALU_DEP_4) | instskip(SKIP_1) | instid1(VALU_DEP_4)
	v_add_f32_e32 v15, v47, v15
	v_mul_f32_e32 v47, 0x3f575c64, v17
	v_add_f32_e32 v20, v23, v21
	s_delay_alu instid0(VALU_DEP_4) | instskip(NEXT) | instid1(VALU_DEP_3)
	v_dual_mul_f32 v21, 0xbf0a6770, v57 :: v_dual_add_f32 v12, v12, v7
	v_fmamk_f32 v7, v10, 0x3f0a6770, v47
	s_delay_alu instid0(VALU_DEP_2) | instskip(SKIP_1) | instid1(VALU_DEP_3)
	v_fmamk_f32 v58, v56, 0x3f575c64, v21
	v_fma_f32 v21, 0x3f575c64, v56, -v21
	v_add_f32_e32 v51, v7, v51
	s_delay_alu instid0(VALU_DEP_2) | instskip(SKIP_1) | instid1(VALU_DEP_1)
	v_add_f32_e32 v21, v21, v22
	v_fmac_f32_e32 v47, 0xbf0a6770, v10
	v_dual_add_f32 v22, v47, v49 :: v_dual_add_f32 v11, v53, v11
	v_mul_f32_e32 v53, 0xbe11bafb, v17
	v_mul_f32_e32 v47, 0x3f68dda4, v57
	s_delay_alu instid0(VALU_DEP_2) | instskip(NEXT) | instid1(VALU_DEP_1)
	v_fmamk_f32 v23, v10, 0xbf7d64f0, v53
	v_dual_add_f32 v23, v23, v44 :: v_dual_add_f32 v44, v58, v46
	v_fmac_f32_e32 v53, 0x3f7d64f0, v10
	v_mul_f32_e32 v46, 0xbe903f40, v57
	s_delay_alu instid0(VALU_DEP_1) | instskip(SKIP_1) | instid1(VALU_DEP_2)
	v_dual_add_f32 v16, v53, v16 :: v_dual_fmamk_f32 v53, v56, 0xbf75a155, v46
	v_fma_f32 v46, 0xbf75a155, v56, -v46
	v_dual_add_f32 v50, v53, v50 :: v_dual_mul_f32 v7, 0xbf75a155, v17
	v_fmamk_f32 v53, v56, 0x3ed4b147, v47
	v_mul_f32_e32 v17, 0x3ed4b147, v17
	s_delay_alu instid0(VALU_DEP_4) | instskip(SKIP_4) | instid1(VALU_DEP_2)
	v_add_f32_e32 v45, v46, v45
	v_fma_f32 v47, 0x3ed4b147, v56, -v47
	v_fmamk_f32 v49, v10, 0x3e903f40, v7
	v_fmac_f32_e32 v7, 0xbe903f40, v10
	v_sub_f32_e32 v56, v90, v18
	v_dual_add_f32 v46, v7, v55 :: v_dual_add_f32 v55, v90, v18
	s_delay_alu instid0(VALU_DEP_4) | instskip(SKIP_3) | instid1(VALU_DEP_3)
	v_add_f32_e32 v49, v49, v52
	v_dual_add_f32 v52, v53, v54 :: v_dual_sub_f32 v53, v8, v9
	v_dual_add_f32 v54, v8, v9 :: v_dual_fmamk_f32 v7, v10, 0xbf68dda4, v17
	v_fmac_f32_e32 v17, 0x3f68dda4, v10
	v_mul_f32_e32 v8, 0xbe903f40, v53
	s_delay_alu instid0(VALU_DEP_3) | instskip(SKIP_2) | instid1(VALU_DEP_4)
	v_dual_mul_f32 v9, 0xbf75a155, v54 :: v_dual_add_f32 v48, v7, v48
	v_add_f32_e32 v47, v47, v13
	v_mul_f32_e32 v13, 0x3f0a6770, v53
	v_fmamk_f32 v7, v55, 0xbf75a155, v8
	s_delay_alu instid0(VALU_DEP_4) | instskip(SKIP_1) | instid1(VALU_DEP_3)
	v_dual_fmamk_f32 v10, v56, 0x3e903f40, v9 :: v_dual_add_f32 v57, v17, v6
	v_mul_f32_e32 v17, 0xbf4178ce, v53
	v_dual_fmac_f32 v9, 0xbe903f40, v56 :: v_dual_add_f32 v6, v7, v14
	s_delay_alu instid0(VALU_DEP_3) | instskip(SKIP_2) | instid1(VALU_DEP_4)
	v_dual_add_f32 v7, v10, v11 :: v_dual_fmamk_f32 v10, v55, 0x3f575c64, v13
	v_mul_f32_e32 v14, 0x3f575c64, v54
	v_fma_f32 v13, 0x3f575c64, v55, -v13
	v_dual_mul_f32 v18, 0xbf27a4f4, v54 :: v_dual_add_f32 v9, v9, v20
	s_delay_alu instid0(VALU_DEP_3) | instskip(SKIP_1) | instid1(VALU_DEP_4)
	v_dual_add_f32 v10, v10, v15 :: v_dual_fmamk_f32 v11, v56, 0xbf0a6770, v14
	v_fmac_f32_e32 v14, 0x3f0a6770, v56
	v_dual_fmamk_f32 v15, v55, 0xbf27a4f4, v17 :: v_dual_add_f32 v12, v13, v12
	s_delay_alu instid0(VALU_DEP_3) | instskip(NEXT) | instid1(VALU_DEP_3)
	v_add_f32_e32 v11, v11, v23
	v_add_f32_e32 v13, v14, v16
	s_delay_alu instid0(VALU_DEP_3)
	v_add_f32_e32 v14, v15, v44
	v_mul_f32_e32 v44, 0xbf7d64f0, v53
	v_fma_f32 v8, 0xbf75a155, v55, -v8
	v_fmamk_f32 v15, v56, 0x3f4178ce, v18
	v_fmac_f32_e32 v18, 0xbf4178ce, v56
	v_fma_f32 v16, 0xbf27a4f4, v55, -v17
	s_delay_alu instid0(VALU_DEP_4) | instskip(SKIP_1) | instid1(VALU_DEP_3)
	v_dual_mul_f32 v23, 0x3ed4b147, v54 :: v_dual_add_f32 v8, v8, v19
	v_mul_f32_e32 v19, 0x3f68dda4, v53
	v_dual_add_f32 v17, v18, v22 :: v_dual_add_f32 v16, v16, v21
	s_delay_alu instid0(VALU_DEP_3) | instskip(SKIP_1) | instid1(VALU_DEP_4)
	v_fmamk_f32 v21, v56, 0xbf68dda4, v23
	v_fmac_f32_e32 v23, 0x3f68dda4, v56
	v_fmamk_f32 v20, v55, 0x3ed4b147, v19
	v_fma_f32 v22, 0x3ed4b147, v55, -v19
	v_add_f32_e32 v15, v15, v51
	v_add_f32_e32 v19, v21, v49
	;; [unrolled: 1-line block ×4, first 2 shown]
	v_mul_f32_e32 v50, 0xbe11bafb, v54
	v_add_f32_e32 v20, v22, v45
	v_fmamk_f32 v22, v55, 0xbe11bafb, v44
	v_fma_f32 v44, 0xbe11bafb, v55, -v44
	s_delay_alu instid0(VALU_DEP_4) | instskip(SKIP_1) | instid1(VALU_DEP_4)
	v_fmamk_f32 v45, v56, 0x3f7d64f0, v50
	v_fmac_f32_e32 v50, 0xbf7d64f0, v56
	v_add_f32_e32 v22, v22, v52
	s_delay_alu instid0(VALU_DEP_3) | instskip(NEXT) | instid1(VALU_DEP_3)
	v_dual_add_f32 v44, v44, v47 :: v_dual_add_f32 v23, v45, v48
	v_add_f32_e32 v45, v50, v57
	ds_store_2addr_b64 v115, v[4:5], v[6:7] offset1:16
	ds_store_2addr_b64 v115, v[10:11], v[14:15] offset0:32 offset1:48
	ds_store_2addr_b64 v115, v[18:19], v[22:23] offset0:64 offset1:80
	;; [unrolled: 1-line block ×4, first 2 shown]
	ds_store_b64 v115, v[8:9] offset:1280
	global_wb scope:SCOPE_SE
	s_wait_dscnt 0x0
	s_barrier_signal -1
	s_barrier_wait -1
	global_inv scope:SCOPE_SE
	ds_load_2addr_b64 v[4:7], v97 offset1:176
	ds_load_2addr_b64 v[8:11], v0 offset0:32 offset1:208
	ds_load_2addr_b64 v[12:15], v2 offset0:64 offset1:240
	;; [unrolled: 1-line block ×3, first 2 shown]
	ds_load_2addr_b64 v[20:23], v1 offset1:176
	ds_load_b64 v[44:45], v97 offset:14080
	s_wait_dscnt 0x4
	v_dual_mul_f32 v46, v41, v7 :: v_dual_mul_f32 v47, v43, v9
	s_delay_alu instid0(VALU_DEP_1) | instskip(SKIP_1) | instid1(VALU_DEP_3)
	v_dual_mul_f32 v43, v43, v8 :: v_dual_fmac_f32 v46, v40, v6
	v_mul_f32_e32 v41, v41, v6
	v_dual_fmac_f32 v47, v42, v8 :: v_dual_mul_f32 v8, v37, v11
	s_delay_alu instid0(VALU_DEP_3) | instskip(NEXT) | instid1(VALU_DEP_3)
	v_fma_f32 v9, v42, v9, -v43
	v_fma_f32 v6, v40, v7, -v41
	v_mul_f32_e32 v7, v37, v10
	s_wait_dscnt 0x3
	v_mul_f32_e32 v37, v39, v13
	v_dual_mul_f32 v39, v39, v12 :: v_dual_fmac_f32 v8, v36, v10
	v_mul_f32_e32 v10, v29, v15
	v_fma_f32 v11, v36, v11, -v7
	s_delay_alu instid0(VALU_DEP_4) | instskip(NEXT) | instid1(VALU_DEP_4)
	v_fmac_f32_e32 v37, v38, v12
	v_fma_f32 v12, v38, v13, -v39
	v_mul_f32_e32 v7, v29, v14
	s_wait_dscnt 0x2
	v_dual_fmac_f32 v10, v28, v14 :: v_dual_mul_f32 v13, v31, v17
	v_add_f32_e32 v14, v4, v46
	v_add_f32_e32 v29, v5, v6
	v_fma_f32 v15, v28, v15, -v7
	v_mul_f32_e32 v7, v31, v16
	v_fmac_f32_e32 v13, v30, v16
	v_add_f32_e32 v14, v14, v47
	v_add_f32_e32 v16, v29, v9
	v_mul_f32_e32 v28, v25, v19
	v_fma_f32 v17, v30, v17, -v7
	s_delay_alu instid0(VALU_DEP_4) | instskip(NEXT) | instid1(VALU_DEP_4)
	v_dual_mul_f32 v7, v25, v18 :: v_dual_add_f32 v14, v14, v8
	v_add_f32_e32 v16, v16, v11
	s_delay_alu instid0(VALU_DEP_4)
	v_fmac_f32_e32 v28, v24, v18
	s_wait_dscnt 0x1
	v_mul_f32_e32 v18, v27, v21
	v_fma_f32 v19, v24, v19, -v7
	v_dual_add_f32 v7, v14, v37 :: v_dual_add_f32 v14, v16, v12
	v_mul_f32_e32 v16, v27, v20
	s_delay_alu instid0(VALU_DEP_4)
	v_fmac_f32_e32 v18, v26, v20
	v_mul_f32_e32 v20, v33, v23
	s_wait_dscnt 0x0
	v_mul_f32_e32 v24, v35, v45
	v_add_f32_e32 v14, v14, v15
	v_fma_f32 v16, v26, v21, -v16
	v_dual_mul_f32 v21, v35, v44 :: v_dual_fmac_f32 v20, v32, v22
	v_mul_f32_e32 v22, v33, v22
	v_fmac_f32_e32 v24, v34, v44
	v_add_f32_e32 v14, v14, v17
	s_delay_alu instid0(VALU_DEP_4) | instskip(NEXT) | instid1(VALU_DEP_4)
	v_fma_f32 v21, v34, v45, -v21
	v_fma_f32 v22, v32, v23, -v22
	s_delay_alu instid0(VALU_DEP_3) | instskip(NEXT) | instid1(VALU_DEP_3)
	v_add_f32_e32 v14, v14, v19
	v_sub_f32_e32 v25, v6, v21
	v_add_f32_e32 v27, v6, v21
	s_delay_alu instid0(VALU_DEP_4)
	v_sub_f32_e32 v45, v9, v22
	v_add_f32_e32 v23, v46, v24
	v_add_f32_e32 v14, v14, v16
	v_mul_f32_e32 v38, 0xbf4178ce, v25
	v_mul_f32_e32 v30, 0x3f575c64, v27
	;; [unrolled: 1-line block ×4, first 2 shown]
	s_delay_alu instid0(VALU_DEP_4) | instskip(SKIP_2) | instid1(VALU_DEP_3)
	v_dual_mul_f32 v41, 0xbf27a4f4, v27 :: v_dual_fmamk_f32 v40, v23, 0xbf27a4f4, v38
	v_fma_f32 v38, 0xbf27a4f4, v23, -v38
	v_mul_f32_e32 v27, 0xbf75a155, v27
	v_dual_add_f32 v9, v9, v22 :: v_dual_add_f32 v40, v4, v40
	s_delay_alu instid0(VALU_DEP_3) | instskip(SKIP_2) | instid1(VALU_DEP_2)
	v_add_f32_e32 v38, v4, v38
	v_mul_f32_e32 v34, 0xbf7d64f0, v25
	v_mul_f32_e32 v26, 0xbf0a6770, v25
	v_fmamk_f32 v35, v23, 0xbe11bafb, v34
	v_fma_f32 v34, 0xbe11bafb, v23, -v34
	s_delay_alu instid0(VALU_DEP_1) | instskip(SKIP_1) | instid1(VALU_DEP_1)
	v_add_f32_e32 v34, v4, v34
	v_add_f32_e32 v7, v7, v10
	;; [unrolled: 1-line block ×3, first 2 shown]
	s_delay_alu instid0(VALU_DEP_1) | instskip(NEXT) | instid1(VALU_DEP_1)
	v_add_f32_e32 v7, v7, v28
	v_add_f32_e32 v7, v7, v18
	s_delay_alu instid0(VALU_DEP_1) | instskip(SKIP_2) | instid1(VALU_DEP_3)
	v_dual_add_f32 v6, v7, v20 :: v_dual_add_f32 v7, v14, v22
	v_sub_f32_e32 v14, v46, v24
	v_mul_f32_e32 v22, 0xbf68dda4, v45
	v_dual_fmamk_f32 v29, v23, 0x3f575c64, v26 :: v_dual_add_f32 v6, v6, v24
	v_fma_f32 v26, 0x3f575c64, v23, -v26
	s_delay_alu instid0(VALU_DEP_4)
	v_fmamk_f32 v24, v14, 0x3f0a6770, v30
	v_fmac_f32_e32 v30, 0xbf0a6770, v14
	v_fmamk_f32 v44, v14, 0x3e903f40, v27
	v_fmamk_f32 v39, v14, 0x3f7d64f0, v36
	v_fmac_f32_e32 v36, 0xbf7d64f0, v14
	v_fmamk_f32 v42, v14, 0x3f4178ce, v41
	v_dual_add_f32 v30, v5, v30 :: v_dual_fmamk_f32 v33, v14, 0x3f68dda4, v31
	v_dual_fmac_f32 v41, 0xbf4178ce, v14 :: v_dual_add_f32 v44, v5, v44
	v_dual_add_f32 v46, v47, v20 :: v_dual_fmac_f32 v27, 0xbe903f40, v14
	s_delay_alu instid0(VALU_DEP_3) | instskip(SKIP_3) | instid1(VALU_DEP_3)
	v_add_f32_e32 v33, v5, v33
	v_dual_fmac_f32 v31, 0xbf68dda4, v14 :: v_dual_sub_f32 v14, v47, v20
	v_mul_f32_e32 v20, 0x3ed4b147, v9
	v_dual_add_f32 v7, v7, v21 :: v_dual_add_f32 v24, v5, v24
	v_dual_add_f32 v31, v5, v31 :: v_dual_add_f32 v26, v4, v26
	v_add_f32_e32 v39, v5, v39
	v_add_f32_e32 v36, v5, v36
	;; [unrolled: 1-line block ×5, first 2 shown]
	v_fmamk_f32 v27, v14, 0x3f68dda4, v20
	v_add_f32_e32 v21, v4, v29
	v_mul_f32_e32 v29, 0xbf68dda4, v25
	v_mul_f32_e32 v25, 0xbe903f40, v25
	v_fmac_f32_e32 v20, 0xbf68dda4, v14
	v_add_f32_e32 v24, v27, v24
	s_delay_alu instid0(VALU_DEP_4)
	v_fmamk_f32 v32, v23, 0x3ed4b147, v29
	v_fma_f32 v29, 0x3ed4b147, v23, -v29
	v_fmamk_f32 v43, v23, 0xbf75a155, v25
	v_fma_f32 v23, 0xbf75a155, v23, -v25
	;; [unrolled: 2-line block ×3, first 2 shown]
	v_add_f32_e32 v32, v4, v32
	v_add_f32_e32 v29, v4, v29
	;; [unrolled: 1-line block ×3, first 2 shown]
	s_delay_alu instid0(VALU_DEP_4) | instskip(SKIP_2) | instid1(VALU_DEP_2)
	v_dual_add_f32 v21, v25, v21 :: v_dual_add_f32 v22, v22, v26
	v_mul_f32_e32 v26, 0x3e903f40, v45
	v_dual_add_f32 v20, v20, v30 :: v_dual_mul_f32 v27, 0xbf27a4f4, v9
	v_fmamk_f32 v47, v46, 0xbf75a155, v26
	v_fma_f32 v26, 0xbf75a155, v46, -v26
	s_delay_alu instid0(VALU_DEP_3) | instskip(NEXT) | instid1(VALU_DEP_2)
	v_fmamk_f32 v30, v14, 0x3f4178ce, v27
	v_dual_add_f32 v26, v26, v34 :: v_dual_add_f32 v35, v4, v35
	v_dual_add_f32 v4, v4, v23 :: v_dual_mul_f32 v23, 0xbf4178ce, v45
	s_delay_alu instid0(VALU_DEP_3) | instskip(SKIP_1) | instid1(VALU_DEP_3)
	v_add_f32_e32 v30, v30, v33
	v_mul_f32_e32 v34, 0x3f0a6770, v45
	v_fmamk_f32 v25, v46, 0xbf27a4f4, v23
	v_fma_f32 v23, 0xbf27a4f4, v46, -v23
	s_delay_alu instid0(VALU_DEP_2) | instskip(NEXT) | instid1(VALU_DEP_2)
	v_dual_add_f32 v25, v25, v32 :: v_dual_mul_f32 v32, 0xbf75a155, v9
	v_add_f32_e32 v23, v23, v29
	v_fmac_f32_e32 v27, 0xbf4178ce, v14
	s_delay_alu instid0(VALU_DEP_3) | instskip(NEXT) | instid1(VALU_DEP_1)
	v_fmamk_f32 v29, v14, 0xbe903f40, v32
	v_dual_fmac_f32 v32, 0x3e903f40, v14 :: v_dual_add_f32 v29, v29, v39
	s_delay_alu instid0(VALU_DEP_1) | instskip(NEXT) | instid1(VALU_DEP_1)
	v_dual_add_f32 v32, v32, v36 :: v_dual_mul_f32 v33, 0x3f7d64f0, v45
	v_fmamk_f32 v39, v46, 0xbe11bafb, v33
	v_fma_f32 v33, 0xbe11bafb, v46, -v33
	s_delay_alu instid0(VALU_DEP_2) | instskip(NEXT) | instid1(VALU_DEP_2)
	v_dual_add_f32 v39, v39, v40 :: v_dual_fmamk_f32 v40, v46, 0x3f575c64, v34
	v_add_f32_e32 v33, v33, v38
	v_fma_f32 v34, 0x3f575c64, v46, -v34
	s_delay_alu instid0(VALU_DEP_3)
	v_add_f32_e32 v38, v40, v43
	v_sub_f32_e32 v40, v11, v16
	v_dual_add_f32 v11, v11, v16 :: v_dual_add_f32 v16, v8, v18
	v_dual_sub_f32 v8, v8, v18 :: v_dual_add_f32 v27, v27, v31
	v_add_f32_e32 v31, v47, v35
	v_dual_mul_f32 v35, 0xbe11bafb, v9 :: v_dual_add_f32 v4, v34, v4
	v_mul_f32_e32 v34, 0x3e903f40, v40
	v_mul_f32_e32 v43, 0x3ed4b147, v11
	s_delay_alu instid0(VALU_DEP_3) | instskip(SKIP_1) | instid1(VALU_DEP_2)
	v_fmamk_f32 v36, v14, 0xbf7d64f0, v35
	v_fmac_f32_e32 v35, 0x3f7d64f0, v14
	v_add_f32_e32 v36, v36, v42
	v_mul_f32_e32 v42, 0xbf7d64f0, v40
	v_mul_f32_e32 v9, 0x3f575c64, v9
	s_delay_alu instid0(VALU_DEP_4) | instskip(NEXT) | instid1(VALU_DEP_2)
	v_add_f32_e32 v35, v35, v41
	v_fmamk_f32 v41, v14, 0xbf0a6770, v9
	v_fmac_f32_e32 v9, 0x3f0a6770, v14
	v_mul_f32_e32 v14, 0xbe11bafb, v11
	s_delay_alu instid0(VALU_DEP_3) | instskip(NEXT) | instid1(VALU_DEP_3)
	v_dual_add_f32 v18, v41, v44 :: v_dual_fmamk_f32 v41, v16, 0xbe11bafb, v42
	v_add_f32_e32 v5, v9, v5
	s_delay_alu instid0(VALU_DEP_3) | instskip(NEXT) | instid1(VALU_DEP_3)
	v_fmamk_f32 v9, v8, 0x3f7d64f0, v14
	v_dual_fmac_f32 v14, 0xbf7d64f0, v8 :: v_dual_add_f32 v21, v41, v21
	v_fma_f32 v41, 0xbe11bafb, v16, -v42
	v_mul_f32_e32 v42, 0xbf75a155, v11
	s_delay_alu instid0(VALU_DEP_3) | instskip(SKIP_4) | instid1(VALU_DEP_4)
	v_add_f32_e32 v14, v14, v20
	v_mul_f32_e32 v20, 0x3f68dda4, v40
	v_dual_add_f32 v9, v9, v24 :: v_dual_fmamk_f32 v24, v16, 0xbf75a155, v34
	v_add_f32_e32 v22, v41, v22
	v_fma_f32 v34, 0xbf75a155, v16, -v34
	v_fmamk_f32 v41, v16, 0x3ed4b147, v20
	v_fma_f32 v20, 0x3ed4b147, v16, -v20
	s_delay_alu instid0(VALU_DEP_3) | instskip(SKIP_1) | instid1(VALU_DEP_3)
	v_dual_add_f32 v24, v24, v25 :: v_dual_add_f32 v23, v34, v23
	v_mul_f32_e32 v34, 0xbf0a6770, v40
	v_add_f32_e32 v20, v20, v26
	v_fmamk_f32 v25, v8, 0xbe903f40, v42
	v_mul_f32_e32 v40, 0xbf4178ce, v40
	s_delay_alu instid0(VALU_DEP_2) | instskip(SKIP_3) | instid1(VALU_DEP_2)
	v_dual_fmac_f32 v42, 0x3e903f40, v8 :: v_dual_add_f32 v25, v25, v30
	v_dual_add_f32 v30, v41, v31 :: v_dual_fmamk_f32 v31, v8, 0xbf68dda4, v43
	v_fmac_f32_e32 v43, 0x3f68dda4, v8
	v_mul_f32_e32 v41, 0x3f575c64, v11
	v_dual_mul_f32 v11, 0xbf27a4f4, v11 :: v_dual_add_f32 v26, v43, v32
	s_delay_alu instid0(VALU_DEP_2) | instskip(NEXT) | instid1(VALU_DEP_1)
	v_fmamk_f32 v32, v8, 0x3f0a6770, v41
	v_add_f32_e32 v32, v32, v36
	v_fmamk_f32 v36, v16, 0xbf27a4f4, v40
	s_delay_alu instid0(VALU_DEP_1) | instskip(SKIP_1) | instid1(VALU_DEP_1)
	v_add_f32_e32 v36, v36, v38
	v_fmamk_f32 v38, v8, 0x3f4178ce, v11
	v_dual_fmac_f32 v11, 0xbf4178ce, v8 :: v_dual_add_f32 v18, v38, v18
	v_fmac_f32_e32 v41, 0xbf0a6770, v8
	v_dual_sub_f32 v8, v37, v28 :: v_dual_add_f32 v29, v31, v29
	v_fmamk_f32 v31, v16, 0x3f575c64, v34
	v_fma_f32 v34, 0x3f575c64, v16, -v34
	v_fma_f32 v16, 0xbf27a4f4, v16, -v40
	s_delay_alu instid0(VALU_DEP_3) | instskip(SKIP_1) | instid1(VALU_DEP_4)
	v_add_f32_e32 v31, v31, v39
	v_add_f32_e32 v39, v37, v28
	v_dual_add_f32 v33, v34, v33 :: v_dual_add_f32 v34, v41, v35
	v_sub_f32_e32 v35, v12, v19
	v_add_f32_e32 v12, v12, v19
	v_dual_add_f32 v4, v16, v4 :: v_dual_add_f32 v27, v42, v27
	s_delay_alu instid0(VALU_DEP_2) | instskip(NEXT) | instid1(VALU_DEP_4)
	v_dual_mul_f32 v28, 0xbf27a4f4, v12 :: v_dual_add_f32 v5, v11, v5
	v_mul_f32_e32 v19, 0xbf4178ce, v35
	s_delay_alu instid0(VALU_DEP_2) | instskip(SKIP_1) | instid1(VALU_DEP_3)
	v_fmamk_f32 v11, v8, 0x3f4178ce, v28
	v_fmac_f32_e32 v28, 0xbf4178ce, v8
	v_fmamk_f32 v37, v39, 0xbf27a4f4, v19
	v_fma_f32 v19, 0xbf27a4f4, v39, -v19
	s_delay_alu instid0(VALU_DEP_3) | instskip(NEXT) | instid1(VALU_DEP_3)
	v_add_f32_e32 v14, v28, v14
	v_dual_add_f32 v16, v37, v21 :: v_dual_mul_f32 v21, 0x3f7d64f0, v35
	v_add_f32_e32 v9, v11, v9
	v_mul_f32_e32 v11, 0xbe11bafb, v12
	v_dual_add_f32 v19, v19, v22 :: v_dual_mul_f32 v22, 0xbf0a6770, v35
	s_delay_alu instid0(VALU_DEP_4) | instskip(SKIP_1) | instid1(VALU_DEP_4)
	v_fmamk_f32 v37, v39, 0xbe11bafb, v21
	v_fma_f32 v21, 0xbe11bafb, v39, -v21
	v_fmamk_f32 v28, v8, 0xbf7d64f0, v11
	v_fmac_f32_e32 v11, 0x3f7d64f0, v8
	s_delay_alu instid0(VALU_DEP_4) | instskip(NEXT) | instid1(VALU_DEP_3)
	v_dual_add_f32 v24, v37, v24 :: v_dual_fmamk_f32 v37, v39, 0x3f575c64, v22
	v_dual_add_f32 v25, v28, v25 :: v_dual_mul_f32 v28, 0x3f575c64, v12
	v_add_f32_e32 v21, v21, v23
	s_delay_alu instid0(VALU_DEP_4) | instskip(NEXT) | instid1(VALU_DEP_4)
	v_add_f32_e32 v23, v11, v27
	v_add_f32_e32 v27, v37, v30
	v_fma_f32 v22, 0x3f575c64, v39, -v22
	v_fmamk_f32 v30, v8, 0x3f0a6770, v28
	v_mul_f32_e32 v37, 0xbf75a155, v12
	v_mul_f32_e32 v12, 0x3ed4b147, v12
	v_fmac_f32_e32 v28, 0xbf0a6770, v8
	v_dual_add_f32 v20, v22, v20 :: v_dual_mul_f32 v11, 0xbe903f40, v35
	v_dual_add_f32 v29, v30, v29 :: v_dual_mul_f32 v30, 0x3f68dda4, v35
	v_fmamk_f32 v22, v8, 0x3e903f40, v37
	v_fmac_f32_e32 v37, 0xbe903f40, v8
	s_delay_alu instid0(VALU_DEP_4)
	v_fmamk_f32 v38, v39, 0xbf75a155, v11
	v_sub_f32_e32 v35, v15, v17
	v_add_f32_e32 v17, v15, v17
	v_fma_f32 v15, 0x3ed4b147, v39, -v30
	v_add_f32_e32 v26, v28, v26
	v_add_f32_e32 v28, v38, v31
	v_fma_f32 v11, 0xbf75a155, v39, -v11
	s_delay_alu instid0(VALU_DEP_4) | instskip(SKIP_3) | instid1(VALU_DEP_3)
	v_dual_add_f32 v34, v37, v34 :: v_dual_add_f32 v37, v15, v4
	v_dual_fmamk_f32 v31, v39, 0x3ed4b147, v30 :: v_dual_add_f32 v22, v22, v32
	v_fmamk_f32 v32, v8, 0xbf68dda4, v12
	v_fmac_f32_e32 v12, 0x3f68dda4, v8
	v_dual_sub_f32 v30, v10, v13 :: v_dual_add_f32 v31, v31, v36
	v_add_f32_e32 v36, v10, v13
	v_add_f32_e32 v33, v11, v33
	s_delay_alu instid0(VALU_DEP_4) | instskip(SKIP_3) | instid1(VALU_DEP_4)
	v_dual_mul_f32 v11, 0xbe903f40, v35 :: v_dual_add_f32 v38, v12, v5
	v_mul_f32_e32 v12, 0x3f0a6770, v35
	v_mul_f32_e32 v10, 0xbf75a155, v17
	;; [unrolled: 1-line block ×3, first 2 shown]
	v_fmamk_f32 v8, v36, 0xbf75a155, v11
	v_dual_mul_f32 v39, 0xbf27a4f4, v17 :: v_dual_add_f32 v32, v32, v18
	s_delay_alu instid0(VALU_DEP_4) | instskip(SKIP_1) | instid1(VALU_DEP_4)
	v_fmamk_f32 v5, v30, 0x3e903f40, v10
	v_fmac_f32_e32 v10, 0xbe903f40, v30
	v_add_f32_e32 v4, v8, v16
	v_fma_f32 v8, 0xbf75a155, v36, -v11
	v_fmamk_f32 v11, v36, 0x3f575c64, v12
	v_fma_f32 v12, 0x3f575c64, v36, -v12
	v_add_f32_e32 v5, v5, v9
	s_delay_alu instid0(VALU_DEP_4) | instskip(NEXT) | instid1(VALU_DEP_4)
	v_dual_add_f32 v9, v10, v14 :: v_dual_add_f32 v8, v8, v19
	v_add_f32_e32 v10, v11, v24
	s_delay_alu instid0(VALU_DEP_4)
	v_add_f32_e32 v12, v12, v21
	v_mul_f32_e32 v21, 0x3ed4b147, v17
	v_mul_f32_e32 v17, 0xbe11bafb, v17
	v_fmamk_f32 v11, v30, 0xbf0a6770, v13
	v_fmac_f32_e32 v13, 0x3f0a6770, v30
	v_fmamk_f32 v16, v30, 0x3f4178ce, v39
	v_fmac_f32_e32 v39, 0xbf4178ce, v30
	v_fmamk_f32 v24, v30, 0x3f7d64f0, v17
	v_mul_f32_e32 v14, 0xbf4178ce, v35
	v_mul_f32_e32 v18, 0x3f68dda4, v35
	v_add_f32_e32 v13, v13, v23
	v_add_f32_e32 v11, v11, v25
	v_fmac_f32_e32 v17, 0xbf7d64f0, v30
	v_fmamk_f32 v15, v36, 0xbf27a4f4, v14
	v_fma_f32 v19, 0xbf27a4f4, v36, -v14
	s_delay_alu instid0(VALU_DEP_2) | instskip(NEXT) | instid1(VALU_DEP_2)
	v_dual_fmamk_f32 v23, v36, 0x3ed4b147, v18 :: v_dual_add_f32 v14, v15, v27
	v_dual_add_f32 v15, v16, v29 :: v_dual_add_f32 v16, v19, v20
	v_fmamk_f32 v19, v30, 0xbf68dda4, v21
	v_fma_f32 v20, 0x3ed4b147, v36, -v18
	s_delay_alu instid0(VALU_DEP_4) | instskip(SKIP_1) | instid1(VALU_DEP_2)
	v_dual_add_f32 v18, v23, v28 :: v_dual_mul_f32 v23, 0xbf7d64f0, v35
	v_fmac_f32_e32 v21, 0x3f68dda4, v30
	v_dual_add_f32 v19, v19, v22 :: v_dual_fmamk_f32 v22, v36, 0xbe11bafb, v23
	v_fma_f32 v25, 0xbe11bafb, v36, -v23
	v_add_f32_e32 v23, v24, v32
	s_delay_alu instid0(VALU_DEP_4) | instskip(NEXT) | instid1(VALU_DEP_4)
	v_dual_add_f32 v20, v20, v33 :: v_dual_add_f32 v21, v21, v34
	v_add_f32_e32 v22, v22, v31
	s_delay_alu instid0(VALU_DEP_4)
	v_add_f32_e32 v24, v25, v37
	v_add_f32_e32 v25, v17, v38
	;; [unrolled: 1-line block ×3, first 2 shown]
	ds_store_2addr_b64 v97, v[6:7], v[4:5] offset1:176
	ds_store_2addr_b64 v0, v[10:11], v[14:15] offset0:32 offset1:208
	ds_store_2addr_b64 v2, v[18:19], v[22:23] offset0:64 offset1:240
	;; [unrolled: 1-line block ×3, first 2 shown]
	ds_store_2addr_b64 v1, v[16:17], v[12:13] offset1:176
	ds_store_b64 v97, v[8:9] offset:14080
	global_wb scope:SCOPE_SE
	s_wait_dscnt 0x0
	s_barrier_signal -1
	s_barrier_wait -1
	global_inv scope:SCOPE_SE
	ds_load_2addr_b64 v[1:4], v97 offset1:176
	ds_load_2addr_b64 v[9:12], v0 offset0:32 offset1:208
	ds_load_b64 v[31:32], v97 offset:13376
	v_mad_co_u64_u32 v[21:22], null, s4, v98, 0
	s_wait_dscnt 0x2
	v_mul_f32_e32 v5, v86, v2
	v_mul_f32_e32 v25, v84, v3
	;; [unrolled: 1-line block ×3, first 2 shown]
	s_wait_dscnt 0x1
	v_mul_f32_e32 v29, v82, v10
	v_mul_f32_e32 v28, v82, v9
	v_fmac_f32_e32 v5, v85, v1
	v_mul_f32_e32 v1, v86, v1
	v_fma_f32 v4, v83, v4, -v25
	v_fmac_f32_e32 v29, v81, v9
	v_fmac_f32_e32 v23, v83, v3
	v_cvt_f64_f32_e32 v[13:14], v5
	v_add_nc_u32_e32 v5, 0x1c00, v97
	v_fma_f32 v2, v85, v2, -v1
	v_mul_f32_e32 v36, v70, v12
	v_mul_f32_e32 v37, v70, v11
	v_cvt_f64_f32_e32 v[23:24], v23
	ds_load_2addr_b64 v[5:8], v5 offset0:72 offset1:248
	v_cvt_f64_f32_e32 v[19:20], v2
	v_fmac_f32_e32 v36, v69, v11
	v_fma_f32 v37, v69, v12, -v37
	s_wait_dscnt 0x1
	v_mul_f32_e32 v42, v80, v32
	v_mul_f32_e32 v43, v80, v31
	v_cvt_f64_f32_e32 v[29:30], v29
	v_mad_co_u64_u32 v[0:1], null, s6, v64, 0
	s_delay_alu instid0(VALU_DEP_4) | instskip(NEXT) | instid1(VALU_DEP_4)
	v_fmac_f32_e32 v42, v79, v31
	v_fma_f32 v43, v79, v32, -v43
	v_cvt_f64_f32_e32 v[37:38], v37
	s_wait_dscnt 0x0
	v_mul_f32_e32 v15, v74, v6
	v_dual_mul_f32 v2, v74, v5 :: v_dual_mul_f32 v27, v76, v7
	s_delay_alu instid0(VALU_DEP_2) | instskip(NEXT) | instid1(VALU_DEP_2)
	v_dual_mul_f32 v26, v76, v8 :: v_dual_fmac_f32 v15, v73, v5
	v_fma_f32 v2, v73, v6, -v2
	s_delay_alu instid0(VALU_DEP_3) | instskip(NEXT) | instid1(VALU_DEP_3)
	v_fma_f32 v27, v75, v8, -v27
	v_fmac_f32_e32 v26, v75, v7
	v_cvt_f64_f32_e32 v[7:8], v4
	v_cvt_f64_f32_e32 v[5:6], v15
	v_fma_f32 v4, v81, v10, -v28
	s_wait_alu 0xfffe
	v_mul_f64_e32 v[17:18], s[2:3], v[13:14]
	v_add_nc_u32_e32 v13, 0x2800, v97
	v_cvt_f64_f32_e32 v[9:10], v27
	ds_load_b64 v[27:28], v97 offset:5632
	v_cvt_f64_f32_e32 v[2:3], v2
	v_cvt_f64_f32_e32 v[33:34], v4
	ds_load_2addr_b64 v[13:16], v13 offset0:40 offset1:216
	v_cvt_f64_f32_e32 v[25:26], v26
	v_mul_f64_e32 v[19:20], s[2:3], v[19:20]
	v_mul_f64_e32 v[23:24], s[2:3], v[23:24]
	;; [unrolled: 1-line block ×4, first 2 shown]
	s_wait_dscnt 0x0
	v_dual_mul_f32 v41, v78, v28 :: v_dual_mul_f32 v4, v68, v14
	v_mul_f32_e32 v39, v72, v16
	v_mul_f32_e32 v35, v68, v13
	s_delay_alu instid0(VALU_DEP_3) | instskip(NEXT) | instid1(VALU_DEP_3)
	v_dual_fmac_f32 v41, v77, v27 :: v_dual_fmac_f32 v4, v67, v13
	v_fmac_f32_e32 v39, v71, v15
	s_delay_alu instid0(VALU_DEP_3)
	v_fma_f32 v13, v67, v14, -v35
	v_cvt_f64_f32_e32 v[35:36], v36
	v_mul_f64_e32 v[7:8], s[2:3], v[7:8]
	v_cvt_f64_f32_e32 v[11:12], v4
	v_mul_f32_e32 v4, v72, v15
	v_mul_f32_e32 v15, v78, v27
	v_mul_f64_e32 v[5:6], s[2:3], v[5:6]
	v_cvt_f64_f32_e32 v[13:14], v13
	v_cvt_f64_f32_e32 v[39:40], v39
	v_fma_f32 v4, v71, v16, -v4
	v_fma_f32 v44, v77, v28, -v15
	v_cvt_f64_f32_e32 v[27:28], v41
	v_cvt_f64_f32_e32 v[41:42], v42
	v_mad_co_u64_u32 v[45:46], null, s7, v64, v[1:2]
	v_cvt_f64_f32_e32 v[15:16], v4
	v_cvt_f64_f32_e32 v[31:32], v44
	;; [unrolled: 1-line block ×3, first 2 shown]
	v_mul_f64_e32 v[2:3], s[2:3], v[2:3]
	v_mov_b32_e32 v4, v22
	v_mul_f64_e32 v[25:26], s[2:3], v[25:26]
	v_mul_f64_e32 v[9:10], s[2:3], v[9:10]
	;; [unrolled: 1-line block ×3, first 2 shown]
	v_mov_b32_e32 v1, v45
	v_cvt_f32_f64_e32 v17, v[17:18]
	v_cvt_f32_f64_e32 v18, v[19:20]
	s_delay_alu instid0(VALU_DEP_3) | instskip(NEXT) | instid1(VALU_DEP_1)
	v_lshlrev_b64_e32 v[0:1], 3, v[0:1]
	v_add_co_u32 v0, s0, s8, v0
	s_wait_alu 0xf1ff
	s_delay_alu instid0(VALU_DEP_2)
	v_add_co_ci_u32_e64 v1, s0, s9, v1, s0
	v_mul_f64_e32 v[35:36], s[2:3], v[35:36]
	v_cvt_f32_f64_e32 v7, v[7:8]
	v_mul_f64_e32 v[11:12], s[2:3], v[11:12]
	v_mad_co_u64_u32 v[46:47], null, s5, v98, v[4:5]
	v_mul_f64_e32 v[13:14], s[2:3], v[13:14]
	v_mul_f64_e32 v[39:40], s[2:3], v[39:40]
	v_cvt_f32_f64_e32 v4, v[5:6]
	v_mul_f64_e32 v[27:28], s[2:3], v[27:28]
	v_mul_f64_e32 v[41:42], s[2:3], v[41:42]
	v_cvt_f32_f64_e32 v6, v[23:24]
	v_mov_b32_e32 v22, v46
	v_mul_f64_e32 v[15:16], s[2:3], v[15:16]
	v_mul_f64_e32 v[31:32], s[2:3], v[31:32]
	;; [unrolled: 1-line block ×3, first 2 shown]
	v_cvt_f32_f64_e32 v5, v[2:3]
	v_lshlrev_b64_e32 v[21:22], 3, v[21:22]
	v_cvt_f32_f64_e32 v8, v[25:26]
	v_cvt_f32_f64_e32 v9, v[9:10]
	s_delay_alu instid0(VALU_DEP_3) | instskip(SKIP_1) | instid1(VALU_DEP_4)
	v_add_co_u32 v0, s0, v0, v21
	s_wait_alu 0xf1ff
	v_add_co_ci_u32_e64 v1, s0, v1, v22, s0
	s_mul_u64 s[0:1], s[4:5], 0x3c8
	v_cvt_f32_f64_e32 v21, v[29:30]
	s_wait_alu 0xfffe
	s_lshl_b64 s[6:7], s[0:1], 3
	v_cvt_f32_f64_e32 v22, v[33:34]
	s_wait_alu 0xfffe
	v_add_co_u32 v2, s0, v0, s6
	s_wait_alu 0xf1ff
	v_add_co_ci_u32_e64 v3, s0, s7, v1, s0
	s_movk_i32 s0, 0xfce8
	s_mov_b32 s1, -1
	global_store_b64 v[0:1], v[17:18], off
	s_wait_alu 0xfffe
	s_mul_u64 s[0:1], s[4:5], s[0:1]
	v_cvt_f32_f64_e32 v10, v[11:12]
	s_wait_alu 0xfffe
	s_lshl_b64 s[4:5], s[0:1], 3
	v_cvt_f32_f64_e32 v12, v[35:36]
	s_wait_alu 0xfffe
	v_add_co_u32 v19, s0, v2, s4
	s_wait_alu 0xf1ff
	v_add_co_ci_u32_e64 v20, s0, s5, v3, s0
	v_cvt_f32_f64_e32 v11, v[13:14]
	v_cvt_f32_f64_e32 v13, v[37:38]
	;; [unrolled: 1-line block ×3, first 2 shown]
	v_add_co_u32 v27, s0, v19, s6
	v_cvt_f32_f64_e32 v14, v[39:40]
	v_cvt_f32_f64_e32 v15, v[15:16]
	v_cvt_f32_f64_e32 v24, v[31:32]
	s_wait_alu 0xf1ff
	v_add_co_ci_u32_e64 v28, s0, s7, v20, s0
	v_cvt_f32_f64_e32 v25, v[41:42]
	v_cvt_f32_f64_e32 v26, v[43:44]
	v_add_co_u32 v29, s0, v27, s4
	s_wait_alu 0xf1ff
	v_add_co_ci_u32_e64 v30, s0, s5, v28, s0
	global_store_b64 v[2:3], v[4:5], off
	v_add_co_u32 v16, s0, v29, s6
	s_wait_alu 0xf1ff
	v_add_co_ci_u32_e64 v17, s0, s7, v30, s0
	global_store_b64 v[19:20], v[6:7], off
	;; [unrolled: 4-line block ×4, first 2 shown]
	v_add_co_u32 v6, s0, v4, s4
	s_wait_alu 0xf1ff
	v_add_co_ci_u32_e64 v7, s0, s5, v5, s0
	s_delay_alu instid0(VALU_DEP_2) | instskip(SKIP_1) | instid1(VALU_DEP_2)
	v_add_co_u32 v0, s0, v6, s6
	s_wait_alu 0xf1ff
	v_add_co_ci_u32_e64 v1, s0, s7, v7, s0
	global_store_b64 v[16:17], v[10:11], off
	global_store_b64 v[2:3], v[12:13], off
	;; [unrolled: 1-line block ×5, first 2 shown]
	s_and_b32 exec_lo, exec_lo, vcc_lo
	s_cbranch_execz .LBB0_31
; %bb.30:
	s_clause 0x1
	global_load_b64 v[2:3], v[65:66], off offset:7040
	global_load_b64 v[4:5], v[65:66], off offset:14784
	ds_load_b64 v[6:7], v97 offset:7040
	ds_load_b64 v[8:9], v97 offset:14784
	v_add_co_u32 v0, vcc_lo, v0, s4
	s_wait_alu 0xfffd
	v_add_co_ci_u32_e32 v1, vcc_lo, s5, v1, vcc_lo
	s_wait_loadcnt_dscnt 0x0
	v_dual_mul_f32 v10, v7, v3 :: v_dual_mul_f32 v11, v9, v5
	v_mul_f32_e32 v3, v6, v3
	s_delay_alu instid0(VALU_DEP_2) | instskip(NEXT) | instid1(VALU_DEP_3)
	v_dual_mul_f32 v5, v8, v5 :: v_dual_fmac_f32 v10, v6, v2
	v_fmac_f32_e32 v11, v8, v4
	s_delay_alu instid0(VALU_DEP_3) | instskip(NEXT) | instid1(VALU_DEP_3)
	v_fma_f32 v6, v2, v7, -v3
	v_fma_f32 v8, v4, v9, -v5
	s_delay_alu instid0(VALU_DEP_4) | instskip(NEXT) | instid1(VALU_DEP_3)
	v_cvt_f64_f32_e32 v[2:3], v10
	v_cvt_f64_f32_e32 v[4:5], v6
	;; [unrolled: 1-line block ×3, first 2 shown]
	s_delay_alu instid0(VALU_DEP_4) | instskip(NEXT) | instid1(VALU_DEP_4)
	v_cvt_f64_f32_e32 v[8:9], v8
	v_mul_f64_e32 v[2:3], s[2:3], v[2:3]
	s_delay_alu instid0(VALU_DEP_4) | instskip(NEXT) | instid1(VALU_DEP_4)
	v_mul_f64_e32 v[4:5], s[2:3], v[4:5]
	v_mul_f64_e32 v[6:7], s[2:3], v[6:7]
	s_delay_alu instid0(VALU_DEP_4) | instskip(NEXT) | instid1(VALU_DEP_4)
	v_mul_f64_e32 v[8:9], s[2:3], v[8:9]
	v_cvt_f32_f64_e32 v2, v[2:3]
	s_delay_alu instid0(VALU_DEP_4) | instskip(NEXT) | instid1(VALU_DEP_4)
	v_cvt_f32_f64_e32 v3, v[4:5]
	v_cvt_f32_f64_e32 v4, v[6:7]
	s_delay_alu instid0(VALU_DEP_4)
	v_cvt_f32_f64_e32 v5, v[8:9]
	v_add_co_u32 v6, vcc_lo, v0, s6
	s_wait_alu 0xfffd
	v_add_co_ci_u32_e32 v7, vcc_lo, s7, v1, vcc_lo
	global_store_b64 v[0:1], v[2:3], off
	global_store_b64 v[6:7], v[4:5], off
.LBB0_31:
	s_nop 0
	s_sendmsg sendmsg(MSG_DEALLOC_VGPRS)
	s_endpgm
	.section	.rodata,"a",@progbits
	.p2align	6, 0x0
	.amdhsa_kernel bluestein_single_back_len1936_dim1_sp_op_CI_CI
		.amdhsa_group_segment_fixed_size 15488
		.amdhsa_private_segment_fixed_size 0
		.amdhsa_kernarg_size 104
		.amdhsa_user_sgpr_count 2
		.amdhsa_user_sgpr_dispatch_ptr 0
		.amdhsa_user_sgpr_queue_ptr 0
		.amdhsa_user_sgpr_kernarg_segment_ptr 1
		.amdhsa_user_sgpr_dispatch_id 0
		.amdhsa_user_sgpr_private_segment_size 0
		.amdhsa_wavefront_size32 1
		.amdhsa_uses_dynamic_stack 0
		.amdhsa_enable_private_segment 0
		.amdhsa_system_sgpr_workgroup_id_x 1
		.amdhsa_system_sgpr_workgroup_id_y 0
		.amdhsa_system_sgpr_workgroup_id_z 0
		.amdhsa_system_sgpr_workgroup_info 0
		.amdhsa_system_vgpr_workitem_id 0
		.amdhsa_next_free_vgpr 216
		.amdhsa_next_free_sgpr 18
		.amdhsa_reserve_vcc 1
		.amdhsa_float_round_mode_32 0
		.amdhsa_float_round_mode_16_64 0
		.amdhsa_float_denorm_mode_32 3
		.amdhsa_float_denorm_mode_16_64 3
		.amdhsa_fp16_overflow 0
		.amdhsa_workgroup_processor_mode 1
		.amdhsa_memory_ordered 1
		.amdhsa_forward_progress 0
		.amdhsa_round_robin_scheduling 0
		.amdhsa_exception_fp_ieee_invalid_op 0
		.amdhsa_exception_fp_denorm_src 0
		.amdhsa_exception_fp_ieee_div_zero 0
		.amdhsa_exception_fp_ieee_overflow 0
		.amdhsa_exception_fp_ieee_underflow 0
		.amdhsa_exception_fp_ieee_inexact 0
		.amdhsa_exception_int_div_zero 0
	.end_amdhsa_kernel
	.text
.Lfunc_end0:
	.size	bluestein_single_back_len1936_dim1_sp_op_CI_CI, .Lfunc_end0-bluestein_single_back_len1936_dim1_sp_op_CI_CI
                                        ; -- End function
	.section	.AMDGPU.csdata,"",@progbits
; Kernel info:
; codeLenInByte = 16452
; NumSgprs: 20
; NumVgprs: 216
; ScratchSize: 0
; MemoryBound: 0
; FloatMode: 240
; IeeeMode: 1
; LDSByteSize: 15488 bytes/workgroup (compile time only)
; SGPRBlocks: 2
; VGPRBlocks: 26
; NumSGPRsForWavesPerEU: 20
; NumVGPRsForWavesPerEU: 216
; Occupancy: 7
; WaveLimiterHint : 1
; COMPUTE_PGM_RSRC2:SCRATCH_EN: 0
; COMPUTE_PGM_RSRC2:USER_SGPR: 2
; COMPUTE_PGM_RSRC2:TRAP_HANDLER: 0
; COMPUTE_PGM_RSRC2:TGID_X_EN: 1
; COMPUTE_PGM_RSRC2:TGID_Y_EN: 0
; COMPUTE_PGM_RSRC2:TGID_Z_EN: 0
; COMPUTE_PGM_RSRC2:TIDIG_COMP_CNT: 0
	.text
	.p2alignl 7, 3214868480
	.fill 96, 4, 3214868480
	.type	__hip_cuid_7e8e31e1ab4b9ccb,@object ; @__hip_cuid_7e8e31e1ab4b9ccb
	.section	.bss,"aw",@nobits
	.globl	__hip_cuid_7e8e31e1ab4b9ccb
__hip_cuid_7e8e31e1ab4b9ccb:
	.byte	0                               ; 0x0
	.size	__hip_cuid_7e8e31e1ab4b9ccb, 1

	.ident	"AMD clang version 19.0.0git (https://github.com/RadeonOpenCompute/llvm-project roc-6.4.0 25133 c7fe45cf4b819c5991fe208aaa96edf142730f1d)"
	.section	".note.GNU-stack","",@progbits
	.addrsig
	.addrsig_sym __hip_cuid_7e8e31e1ab4b9ccb
	.amdgpu_metadata
---
amdhsa.kernels:
  - .args:
      - .actual_access:  read_only
        .address_space:  global
        .offset:         0
        .size:           8
        .value_kind:     global_buffer
      - .actual_access:  read_only
        .address_space:  global
        .offset:         8
        .size:           8
        .value_kind:     global_buffer
      - .actual_access:  read_only
        .address_space:  global
        .offset:         16
        .size:           8
        .value_kind:     global_buffer
      - .actual_access:  read_only
        .address_space:  global
        .offset:         24
        .size:           8
        .value_kind:     global_buffer
      - .actual_access:  read_only
        .address_space:  global
        .offset:         32
        .size:           8
        .value_kind:     global_buffer
      - .offset:         40
        .size:           8
        .value_kind:     by_value
      - .address_space:  global
        .offset:         48
        .size:           8
        .value_kind:     global_buffer
      - .address_space:  global
        .offset:         56
        .size:           8
        .value_kind:     global_buffer
      - .address_space:  global
        .offset:         64
        .size:           8
        .value_kind:     global_buffer
      - .address_space:  global
        .offset:         72
        .size:           8
        .value_kind:     global_buffer
      - .offset:         80
        .size:           4
        .value_kind:     by_value
      - .address_space:  global
        .offset:         88
        .size:           8
        .value_kind:     global_buffer
      - .address_space:  global
        .offset:         96
        .size:           8
        .value_kind:     global_buffer
    .group_segment_fixed_size: 15488
    .kernarg_segment_align: 8
    .kernarg_segment_size: 104
    .language:       OpenCL C
    .language_version:
      - 2
      - 0
    .max_flat_workgroup_size: 176
    .name:           bluestein_single_back_len1936_dim1_sp_op_CI_CI
    .private_segment_fixed_size: 0
    .sgpr_count:     20
    .sgpr_spill_count: 0
    .symbol:         bluestein_single_back_len1936_dim1_sp_op_CI_CI.kd
    .uniform_work_group_size: 1
    .uses_dynamic_stack: false
    .vgpr_count:     216
    .vgpr_spill_count: 0
    .wavefront_size: 32
    .workgroup_processor_mode: 1
amdhsa.target:   amdgcn-amd-amdhsa--gfx1201
amdhsa.version:
  - 1
  - 2
...

	.end_amdgpu_metadata
